;; amdgpu-corpus repo=ROCm/rocFFT kind=compiled arch=gfx950 opt=O3
	.text
	.amdgcn_target "amdgcn-amd-amdhsa--gfx950"
	.amdhsa_code_object_version 6
	.protected	fft_rtc_back_len168_factors_3_7_8_wgs_192_tpt_8_dim2_sp_ip_CI_sbcc_twdbase8_2step_dirReg ; -- Begin function fft_rtc_back_len168_factors_3_7_8_wgs_192_tpt_8_dim2_sp_ip_CI_sbcc_twdbase8_2step_dirReg
	.globl	fft_rtc_back_len168_factors_3_7_8_wgs_192_tpt_8_dim2_sp_ip_CI_sbcc_twdbase8_2step_dirReg
	.p2align	8
	.type	fft_rtc_back_len168_factors_3_7_8_wgs_192_tpt_8_dim2_sp_ip_CI_sbcc_twdbase8_2step_dirReg,@function
fft_rtc_back_len168_factors_3_7_8_wgs_192_tpt_8_dim2_sp_ip_CI_sbcc_twdbase8_2step_dirReg: ; @fft_rtc_back_len168_factors_3_7_8_wgs_192_tpt_8_dim2_sp_ip_CI_sbcc_twdbase8_2step_dirReg
; %bb.0:
	s_load_dwordx4 s[4:7], s[0:1], 0x10
	s_mov_b32 s3, 0
	s_mov_b64 s[16:17], -1
	s_waitcnt lgkmcnt(0)
	s_load_dwordx2 s[12:13], s[4:5], 0x8
	s_load_dwordx2 s[10:11], s[0:1], 0x50
	;; [unrolled: 1-line block ×3, first 2 shown]
	s_waitcnt lgkmcnt(0)
	s_add_u32 s4, s12, -1
	s_addc_u32 s5, s13, -1
	s_add_u32 s14, 0, 0xaaaa0000
	s_addc_u32 s15, 0, 42
	s_add_i32 s15, s15, 0xaaaaa80
	s_mul_hi_u32 s21, s14, 0xffffffe8
	s_sub_i32 s21, s21, s14
	s_mul_i32 s22, s15, 0xffffffe8
	s_mul_i32 s18, s14, 0xffffffe8
	s_add_i32 s21, s21, s22
	s_mul_hi_u32 s19, s15, s18
	s_mul_i32 s20, s15, s18
	s_mul_i32 s23, s14, s21
	s_mul_hi_u32 s18, s14, s18
	s_mul_hi_u32 s22, s14, s21
	s_add_u32 s18, s18, s23
	s_addc_u32 s22, 0, s22
	s_add_u32 s18, s18, s20
	s_mul_hi_u32 s23, s15, s21
	s_addc_u32 s18, s22, s19
	s_addc_u32 s19, s23, 0
	s_mul_i32 s20, s15, s21
	s_add_u32 s18, s18, s20
	v_mov_b32_e32 v1, s18
	s_addc_u32 s19, 0, s19
	v_add_co_u32_e32 v1, vcc, s14, v1
	s_cmp_lg_u64 vcc, 0
	s_addc_u32 s14, s15, s19
	v_readfirstlane_b32 s19, v1
	s_mul_i32 s18, s4, s14
	s_mul_hi_u32 s20, s4, s19
	s_mul_hi_u32 s15, s4, s14
	s_add_u32 s18, s20, s18
	s_addc_u32 s15, 0, s15
	s_mul_hi_u32 s21, s5, s19
	s_mul_i32 s19, s5, s19
	s_add_u32 s18, s18, s19
	s_mul_hi_u32 s20, s5, s14
	s_addc_u32 s15, s15, s21
	s_addc_u32 s18, s20, 0
	s_mul_i32 s14, s5, s14
	s_add_u32 s14, s15, s14
	s_addc_u32 s15, 0, s18
	s_add_u32 s18, s14, 1
	s_addc_u32 s19, s15, 0
	s_add_u32 s20, s14, 2
	s_mul_i32 s22, s15, 24
	s_mul_hi_u32 s23, s14, 24
	s_addc_u32 s21, s15, 0
	s_add_i32 s23, s23, s22
	s_mul_i32 s22, s14, 24
	v_mov_b32_e32 v1, s22
	v_sub_co_u32_e32 v1, vcc, s4, v1
	s_cmp_lg_u64 vcc, 0
	s_subb_u32 s4, s5, s23
	v_subrev_co_u32_e32 v2, vcc, 24, v1
	s_cmp_lg_u64 vcc, 0
	s_subb_u32 s5, s4, 0
	v_readfirstlane_b32 s22, v2
	s_cmp_gt_u32 s22, 23
	s_cselect_b32 s22, -1, 0
	s_cmp_eq_u32 s5, 0
	s_cselect_b32 s5, s22, -1
	s_cmp_lg_u32 s5, 0
	s_cselect_b32 s5, s20, s18
	s_cselect_b32 s18, s21, s19
	v_readfirstlane_b32 s19, v1
	s_cmp_gt_u32 s19, 23
	s_cselect_b32 s19, -1, 0
	s_cmp_eq_u32 s4, 0
	s_cselect_b32 s4, s19, -1
	s_cmp_lg_u32 s4, 0
	s_cselect_b32 s4, s5, s14
	s_cselect_b32 s15, s18, s15
	s_add_u32 s4, s4, 1
	s_addc_u32 s5, s15, 0
	v_mov_b64_e32 v[2:3], s[4:5]
	v_cmp_lt_u64_e32 vcc, s[2:3], v[2:3]
	s_mov_b64 s[18:19], 0
	s_cbranch_vccnz .LBB0_2
; %bb.1:
	v_cvt_f32_u32_e32 v1, s4
	s_sub_i32 s3, 0, s4
	v_rcp_iflag_f32_e32 v1, v1
	s_nop 0
	v_mul_f32_e32 v1, 0x4f7ffffe, v1
	v_cvt_u32_f32_e32 v1, v1
	s_nop 0
	v_readfirstlane_b32 s14, v1
	s_mul_i32 s3, s3, s14
	s_mul_hi_u32 s3, s14, s3
	s_add_i32 s14, s14, s3
	s_mul_hi_u32 s3, s2, s14
	s_mul_i32 s15, s3, s4
	s_sub_i32 s15, s2, s15
	s_add_i32 s14, s3, 1
	s_sub_i32 s18, s15, s4
	s_cmp_ge_u32 s15, s4
	s_cselect_b32 s3, s14, s3
	s_cselect_b32 s15, s18, s15
	s_add_i32 s14, s3, 1
	s_cmp_ge_u32 s15, s4
	s_cselect_b32 s18, s14, s3
.LBB0_2:
	s_mul_i32 s3, s18, s5
	s_mul_hi_u32 s5, s18, s4
	s_add_i32 s5, s5, s3
	s_mul_i32 s3, s18, s4
	s_sub_u32 s2, s2, s3
	s_subb_u32 s3, 0, s5
	s_load_dwordx4 s[4:7], s[6:7], 0x8
	s_mul_i32 s19, s3, 24
	s_mul_hi_u32 s3, s2, 24
	s_mul_i32 s21, s2, 24
	s_add_i32 s20, s3, s19
	s_waitcnt lgkmcnt(0)
	s_mul_i32 s22, s21, s5
	s_mul_hi_u32 s23, s21, s4
	s_mul_i32 s3, s20, s4
	s_add_i32 s22, s23, s22
	s_mul_i32 s7, s7, s18
	s_mul_hi_u32 s23, s6, s18
	v_mul_u32_u24_e32 v1, 0xaab, v0
	s_add_i32 s22, s22, s3
	s_mul_i32 s3, s21, s4
	s_add_i32 s23, s23, s7
	s_mul_i32 s6, s6, s18
	v_lshrrev_b32_e32 v100, 16, v1
	s_add_u32 s6, s6, s3
	v_mul_lo_u16_e32 v1, 24, v100
	s_load_dwordx2 s[14:15], s[0:1], 0x0
	s_addc_u32 s7, s23, s22
	v_sub_u16_e32 v34, v0, v1
	v_mov_b32_e32 v35, 0
	v_mad_u64_u32 v[36:37], s[2:3], s2, 24, v[34:35]
	s_add_u32 s18, s21, 24
	v_add_u32_e32 v37, s19, v37
	s_addc_u32 s19, s20, 0
	v_mov_b64_e32 v[2:3], s[12:13]
	v_cmp_gt_u64_e32 vcc, s[18:19], v[2:3]
	v_cmp_le_u64_e64 s[2:3], s[18:19], v[2:3]
	s_and_b64 vcc, exec, vcc
	v_add_u32_e32 v50, 8, v100
	v_or_b32_e32 v35, 16, v100
	v_add_u32_e32 v51, 24, v100
	v_or_b32_e32 v52, 48, v100
	s_cbranch_vccnz .LBB0_4
; %bb.3:
	v_mad_u64_u32 v[2:3], s[16:17], s4, v34, 0
	v_mov_b32_e32 v4, v3
	v_mad_u64_u32 v[4:5], s[16:17], s5, v34, v[4:5]
	v_mov_b32_e32 v3, v4
	v_mad_u64_u32 v[4:5], s[16:17], s8, v100, 0
	v_mov_b32_e32 v6, v5
	v_mad_u64_u32 v[6:7], s[16:17], s9, v100, v[6:7]
	s_lshl_b64 s[16:17], s[6:7], 3
	s_add_u32 s16, s10, s16
	s_addc_u32 s17, s11, s17
	v_add_u32_e32 v1, 56, v100
	v_lshl_add_u64 v[38:39], v[2:3], 3, s[16:17]
	v_mad_u64_u32 v[2:3], s[16:17], s8, v1, 0
	v_mov_b32_e32 v5, v6
	v_mov_b32_e32 v6, v3
	v_mad_u64_u32 v[6:7], s[16:17], s9, v1, v[6:7]
	v_mov_b32_e32 v3, v6
	v_or_b32_e32 v1, 0x70, v100
	v_lshl_add_u64 v[6:7], v[2:3], 3, v[38:39]
	v_mad_u64_u32 v[2:3], s[16:17], s8, v1, 0
	v_mov_b32_e32 v8, v3
	v_mad_u64_u32 v[8:9], s[16:17], s9, v1, v[8:9]
	v_mov_b32_e32 v3, v8
	v_add_u32_e32 v101, 8, v100
	v_lshl_add_u64 v[8:9], v[2:3], 3, v[38:39]
	v_mad_u64_u32 v[2:3], s[16:17], s8, v101, 0
	v_mov_b32_e32 v10, v3
	v_mad_u64_u32 v[10:11], s[16:17], s9, v101, v[10:11]
	v_mov_b32_e32 v3, v10
	v_or_b32_e32 v1, 64, v100
	v_lshl_add_u64 v[10:11], v[2:3], 3, v[38:39]
	v_mad_u64_u32 v[2:3], s[16:17], s8, v1, 0
	v_mov_b32_e32 v12, v3
	v_mad_u64_u32 v[12:13], s[16:17], s9, v1, v[12:13]
	v_mov_b32_e32 v3, v12
	v_add_u32_e32 v1, 0x78, v100
	v_lshl_add_u64 v[18:19], v[2:3], 3, v[38:39]
	v_mad_u64_u32 v[2:3], s[16:17], s8, v1, 0
	v_mov_b32_e32 v12, v3
	v_mad_u64_u32 v[12:13], s[16:17], s9, v1, v[12:13]
	v_lshl_add_u64 v[4:5], v[4:5], 3, v[38:39]
	v_mov_b32_e32 v3, v12
	v_or_b32_e32 v1, 16, v100
	v_lshl_add_u64 v[20:21], v[2:3], 3, v[38:39]
	global_load_dwordx2 v[16:17], v[4:5], off
	global_load_dwordx2 v[14:15], v[6:7], off
	;; [unrolled: 1-line block ×4, first 2 shown]
	v_mad_u64_u32 v[4:5], s[16:17], s8, v1, 0
	v_mov_b32_e32 v6, v5
	v_mad_u64_u32 v[6:7], s[16:17], s9, v1, v[6:7]
	v_mov_b32_e32 v5, v6
	v_add_u32_e32 v7, 0x48, v100
	v_lshl_add_u64 v[22:23], v[4:5], 3, v[38:39]
	v_mad_u64_u32 v[4:5], s[16:17], s8, v7, 0
	v_mov_b32_e32 v6, v5
	v_mad_u64_u32 v[6:7], s[16:17], s9, v7, v[6:7]
	v_mov_b32_e32 v5, v6
	v_or_b32_e32 v7, 0x80, v100
	v_lshl_add_u64 v[24:25], v[4:5], 3, v[38:39]
	v_mad_u64_u32 v[4:5], s[16:17], s8, v7, 0
	v_mov_b32_e32 v6, v5
	v_mad_u64_u32 v[6:7], s[16:17], s9, v7, v[6:7]
	v_mov_b32_e32 v5, v6
	v_add_u32_e32 v48, 24, v100
	v_lshl_add_u64 v[26:27], v[4:5], 3, v[38:39]
	global_load_dwordx2 v[8:9], v[18:19], off
	global_load_dwordx2 v[4:5], v[20:21], off
	;; [unrolled: 1-line block ×4, first 2 shown]
	v_mad_u64_u32 v[18:19], s[16:17], s8, v48, 0
	v_mov_b32_e32 v20, v19
	v_mad_u64_u32 v[20:21], s[16:17], s9, v48, v[20:21]
	v_mov_b32_e32 v19, v20
	v_or_b32_e32 v21, 0x50, v100
	v_lshl_add_u64 v[28:29], v[18:19], 3, v[38:39]
	v_mad_u64_u32 v[18:19], s[16:17], s8, v21, 0
	v_mov_b32_e32 v20, v19
	v_mad_u64_u32 v[20:21], s[16:17], s9, v21, v[20:21]
	v_mov_b32_e32 v19, v20
	v_add_u32_e32 v21, 0x88, v100
	v_lshl_add_u64 v[30:31], v[18:19], 3, v[38:39]
	v_mad_u64_u32 v[18:19], s[16:17], s8, v21, 0
	v_mov_b32_e32 v20, v19
	v_mad_u64_u32 v[20:21], s[16:17], s9, v21, v[20:21]
	v_mov_b32_e32 v19, v20
	v_lshl_add_u64 v[32:33], v[18:19], 3, v[38:39]
	global_load_dwordx2 v[20:21], v[26:27], off
	global_load_dwordx2 v[24:25], v[28:29], off
	;; [unrolled: 1-line block ×4, first 2 shown]
	v_or_b32_e32 v29, 32, v100
	v_mad_u64_u32 v[26:27], s[16:17], s8, v29, 0
	v_mov_b32_e32 v28, v27
	v_mad_u64_u32 v[28:29], s[16:17], s9, v29, v[28:29]
	v_mov_b32_e32 v27, v28
	v_add_u32_e32 v29, 0x58, v100
	v_lshl_add_u64 v[40:41], v[26:27], 3, v[38:39]
	v_mad_u64_u32 v[26:27], s[16:17], s8, v29, 0
	v_mov_b32_e32 v28, v27
	v_mad_u64_u32 v[28:29], s[16:17], s9, v29, v[28:29]
	v_mov_b32_e32 v27, v28
	v_or_b32_e32 v29, 0x90, v100
	v_lshl_add_u64 v[42:43], v[26:27], 3, v[38:39]
	v_mad_u64_u32 v[26:27], s[16:17], s8, v29, 0
	v_mov_b32_e32 v28, v27
	v_mad_u64_u32 v[28:29], s[16:17], s9, v29, v[28:29]
	v_mov_b32_e32 v27, v28
	v_add_u32_e32 v29, 40, v100
	v_lshl_add_u64 v[44:45], v[26:27], 3, v[38:39]
	v_mad_u64_u32 v[26:27], s[16:17], s8, v29, 0
	v_mov_b32_e32 v28, v27
	v_mad_u64_u32 v[28:29], s[16:17], s9, v29, v[28:29]
	v_mov_b32_e32 v27, v28
	v_or_b32_e32 v29, 0x60, v100
	v_lshl_add_u64 v[46:47], v[26:27], 3, v[38:39]
	v_mad_u64_u32 v[26:27], s[16:17], s8, v29, 0
	v_mov_b32_e32 v28, v27
	v_mad_u64_u32 v[28:29], s[16:17], s9, v29, v[28:29]
	v_mov_b32_e32 v27, v28
	v_add_u32_e32 v29, 0x98, v100
	v_lshl_add_u64 v[54:55], v[26:27], 3, v[38:39]
	v_mad_u64_u32 v[26:27], s[16:17], s8, v29, 0
	v_mov_b32_e32 v28, v27
	v_mad_u64_u32 v[28:29], s[16:17], s9, v29, v[28:29]
	v_mov_b32_e32 v27, v28
	v_or_b32_e32 v49, 48, v100
	v_lshl_add_u64 v[56:57], v[26:27], 3, v[38:39]
	global_load_dwordx2 v[32:33], v[40:41], off
	global_load_dwordx2 v[30:31], v[42:43], off
	;; [unrolled: 1-line block ×4, first 2 shown]
	v_mad_u64_u32 v[40:41], s[16:17], s8, v49, 0
	v_mov_b32_e32 v42, v41
	v_mad_u64_u32 v[42:43], s[16:17], s9, v49, v[42:43]
	v_mov_b32_e32 v41, v42
	v_add_u32_e32 v43, 0x68, v100
	v_lshl_add_u64 v[58:59], v[40:41], 3, v[38:39]
	v_mad_u64_u32 v[40:41], s[16:17], s8, v43, 0
	v_mov_b32_e32 v42, v41
	v_mad_u64_u32 v[42:43], s[16:17], s9, v43, v[42:43]
	v_mov_b32_e32 v41, v42
	v_or_b32_e32 v43, 0xa0, v100
	v_lshl_add_u64 v[60:61], v[40:41], 3, v[38:39]
	v_mad_u64_u32 v[40:41], s[16:17], s8, v43, 0
	v_mov_b32_e32 v42, v41
	v_mad_u64_u32 v[42:43], s[16:17], s9, v43, v[42:43]
	v_mov_b32_e32 v41, v42
	v_lshl_add_u64 v[62:63], v[40:41], 3, v[38:39]
	global_load_dwordx2 v[40:41], v[54:55], off
	global_load_dwordx2 v[38:39], v[56:57], off
	;; [unrolled: 1-line block ×5, first 2 shown]
	s_cbranch_execz .LBB0_5
	s_branch .LBB0_10
.LBB0_4:
                                        ; implicit-def: $vgpr5
                                        ; implicit-def: $vgpr9
                                        ; implicit-def: $vgpr3
                                        ; implicit-def: $vgpr21
                                        ; implicit-def: $vgpr7
                                        ; implicit-def: $vgpr11
                                        ; implicit-def: $vgpr19
                                        ; implicit-def: $vgpr23
                                        ; implicit-def: $vgpr25
                                        ; implicit-def: $vgpr39
                                        ; implicit-def: $vgpr41
                                        ; implicit-def: $vgpr27
                                        ; implicit-def: $vgpr29
                                        ; implicit-def: $vgpr31
                                        ; implicit-def: $vgpr33
                                        ; implicit-def: $vgpr13
                                        ; implicit-def: $vgpr15
                                        ; implicit-def: $vgpr17
                                        ; implicit-def: $vgpr43
                                        ; implicit-def: $vgpr45
                                        ; implicit-def: $vgpr47
                                        ; implicit-def: $vgpr101
                                        ; implicit-def: $vgpr1
                                        ; implicit-def: $vgpr48
                                        ; implicit-def: $vgpr49
	s_andn2_b64 vcc, exec, s[16:17]
	s_cbranch_vccnz .LBB0_10
.LBB0_5:
	v_cmp_le_u64_e32 vcc, s[12:13], v[36:37]
                                        ; implicit-def: $vgpr101
                                        ; implicit-def: $vgpr1
                                        ; implicit-def: $vgpr48
                                        ; implicit-def: $vgpr49
	s_and_saveexec_b64 s[16:17], vcc
	s_xor_b64 s[16:17], exec, s[16:17]
; %bb.6:
	v_add_u32_e32 v101, 8, v100
	v_or_b32_e32 v1, 16, v100
	v_add_u32_e32 v48, 24, v100
	v_or_b32_e32 v49, 48, v100
                                        ; implicit-def: $vgpr50
                                        ; implicit-def: $vgpr51
                                        ; implicit-def: $vgpr52
; %bb.7:
	s_or_saveexec_b64 s[16:17], s[16:17]
                                        ; implicit-def: $vgpr5
                                        ; implicit-def: $vgpr9
                                        ; implicit-def: $vgpr3
                                        ; implicit-def: $vgpr21
                                        ; implicit-def: $vgpr7
                                        ; implicit-def: $vgpr11
                                        ; implicit-def: $vgpr19
                                        ; implicit-def: $vgpr23
                                        ; implicit-def: $vgpr25
                                        ; implicit-def: $vgpr39
                                        ; implicit-def: $vgpr41
                                        ; implicit-def: $vgpr27
                                        ; implicit-def: $vgpr29
                                        ; implicit-def: $vgpr31
                                        ; implicit-def: $vgpr33
                                        ; implicit-def: $vgpr13
                                        ; implicit-def: $vgpr15
                                        ; implicit-def: $vgpr17
                                        ; implicit-def: $vgpr43
                                        ; implicit-def: $vgpr45
                                        ; implicit-def: $vgpr47
	s_xor_b64 exec, exec, s[16:17]
	s_cbranch_execz .LBB0_9
; %bb.8:
	s_waitcnt vmcnt(17)
	v_mad_u64_u32 v[2:3], s[18:19], s4, v34, 0
	s_waitcnt vmcnt(15)
	v_mov_b32_e32 v4, v3
	v_mad_u64_u32 v[4:5], s[18:19], s5, v34, v[4:5]
	v_mov_b32_e32 v3, v4
	v_mad_u64_u32 v[4:5], s[18:19], s8, v100, 0
	s_waitcnt vmcnt(13)
	v_mov_b32_e32 v6, v5
	v_mad_u64_u32 v[6:7], s[18:19], s9, v100, v[6:7]
	s_lshl_b64 s[18:19], s[6:7], 3
	s_add_u32 s18, s10, s18
	s_addc_u32 s19, s11, s19
	v_add_u32_e32 v1, 56, v100
	s_waitcnt vmcnt(3)
	v_lshl_add_u64 v[38:39], v[2:3], 3, s[18:19]
	v_mad_u64_u32 v[2:3], s[18:19], s8, v1, 0
	v_mov_b32_e32 v5, v6
	v_mov_b32_e32 v6, v3
	v_mad_u64_u32 v[6:7], s[18:19], s9, v1, v[6:7]
	v_mov_b32_e32 v3, v6
	v_or_b32_e32 v1, 0x70, v100
	v_lshl_add_u64 v[6:7], v[2:3], 3, v[38:39]
	v_mad_u64_u32 v[2:3], s[18:19], s8, v1, 0
	v_mov_b32_e32 v8, v3
	v_mad_u64_u32 v[8:9], s[18:19], s9, v1, v[8:9]
	v_mov_b32_e32 v3, v8
	v_lshl_add_u64 v[8:9], v[2:3], 3, v[38:39]
	v_mad_u64_u32 v[2:3], s[18:19], s8, v50, 0
	v_mov_b32_e32 v10, v3
	v_mad_u64_u32 v[10:11], s[18:19], s9, v50, v[10:11]
	v_mov_b32_e32 v3, v10
	v_or_b32_e32 v1, 64, v100
	v_lshl_add_u64 v[10:11], v[2:3], 3, v[38:39]
	v_mad_u64_u32 v[2:3], s[18:19], s8, v1, 0
	v_mov_b32_e32 v12, v3
	v_mad_u64_u32 v[12:13], s[18:19], s9, v1, v[12:13]
	v_mov_b32_e32 v3, v12
	v_add_u32_e32 v1, 0x78, v100
	v_lshl_add_u64 v[18:19], v[2:3], 3, v[38:39]
	v_mad_u64_u32 v[2:3], s[18:19], s8, v1, 0
	v_mov_b32_e32 v12, v3
	v_mad_u64_u32 v[12:13], s[18:19], s9, v1, v[12:13]
	v_lshl_add_u64 v[4:5], v[4:5], 3, v[38:39]
	v_mov_b32_e32 v3, v12
	v_lshl_add_u64 v[20:21], v[2:3], 3, v[38:39]
	global_load_dwordx2 v[16:17], v[4:5], off
	global_load_dwordx2 v[14:15], v[6:7], off
	;; [unrolled: 1-line block ×4, first 2 shown]
	v_mad_u64_u32 v[4:5], s[18:19], s8, v35, 0
	v_mov_b32_e32 v6, v5
	v_mad_u64_u32 v[6:7], s[18:19], s9, v35, v[6:7]
	v_mov_b32_e32 v5, v6
	v_add_u32_e32 v1, 0x48, v100
	v_lshl_add_u64 v[22:23], v[4:5], 3, v[38:39]
	v_mad_u64_u32 v[4:5], s[18:19], s8, v1, 0
	v_mov_b32_e32 v6, v5
	v_mad_u64_u32 v[6:7], s[18:19], s9, v1, v[6:7]
	v_mov_b32_e32 v5, v6
	v_or_b32_e32 v1, 0x80, v100
	v_lshl_add_u64 v[24:25], v[4:5], 3, v[38:39]
	v_mad_u64_u32 v[4:5], s[18:19], s8, v1, 0
	v_mov_b32_e32 v6, v5
	v_mad_u64_u32 v[6:7], s[18:19], s9, v1, v[6:7]
	v_mov_b32_e32 v5, v6
	v_lshl_add_u64 v[26:27], v[4:5], 3, v[38:39]
	global_load_dwordx2 v[8:9], v[18:19], off
	global_load_dwordx2 v[4:5], v[20:21], off
	;; [unrolled: 1-line block ×4, first 2 shown]
	v_mad_u64_u32 v[18:19], s[18:19], s8, v51, 0
	v_mov_b32_e32 v20, v19
	v_mad_u64_u32 v[20:21], s[18:19], s9, v51, v[20:21]
	v_mov_b32_e32 v19, v20
	v_or_b32_e32 v1, 0x50, v100
	v_lshl_add_u64 v[28:29], v[18:19], 3, v[38:39]
	v_mad_u64_u32 v[18:19], s[18:19], s8, v1, 0
	v_mov_b32_e32 v20, v19
	v_mad_u64_u32 v[20:21], s[18:19], s9, v1, v[20:21]
	v_mov_b32_e32 v19, v20
	v_add_u32_e32 v1, 0x88, v100
	v_lshl_add_u64 v[30:31], v[18:19], 3, v[38:39]
	v_mad_u64_u32 v[18:19], s[18:19], s8, v1, 0
	v_mov_b32_e32 v20, v19
	v_mad_u64_u32 v[20:21], s[18:19], s9, v1, v[20:21]
	v_mov_b32_e32 v19, v20
	v_or_b32_e32 v1, 32, v100
	v_lshl_add_u64 v[32:33], v[18:19], 3, v[38:39]
	global_load_dwordx2 v[20:21], v[26:27], off
	global_load_dwordx2 v[24:25], v[28:29], off
	global_load_dwordx2 v[22:23], v[30:31], off
	global_load_dwordx2 v[18:19], v[32:33], off
	v_mad_u64_u32 v[26:27], s[18:19], s8, v1, 0
	v_mov_b32_e32 v28, v27
	v_mad_u64_u32 v[28:29], s[18:19], s9, v1, v[28:29]
	v_mov_b32_e32 v27, v28
	v_add_u32_e32 v1, 0x58, v100
	v_lshl_add_u64 v[40:41], v[26:27], 3, v[38:39]
	v_mad_u64_u32 v[26:27], s[18:19], s8, v1, 0
	v_mov_b32_e32 v28, v27
	v_mad_u64_u32 v[28:29], s[18:19], s9, v1, v[28:29]
	v_mov_b32_e32 v27, v28
	v_or_b32_e32 v1, 0x90, v100
	s_waitcnt vmcnt(12)
	v_lshl_add_u64 v[42:43], v[26:27], 3, v[38:39]
	v_mad_u64_u32 v[26:27], s[18:19], s8, v1, 0
	v_mov_b32_e32 v28, v27
	v_mad_u64_u32 v[28:29], s[18:19], s9, v1, v[28:29]
	v_mov_b32_e32 v27, v28
	v_add_u32_e32 v1, 40, v100
	v_lshl_add_u64 v[44:45], v[26:27], 3, v[38:39]
	v_mad_u64_u32 v[26:27], s[18:19], s8, v1, 0
	v_mov_b32_e32 v28, v27
	v_mad_u64_u32 v[28:29], s[18:19], s9, v1, v[28:29]
	v_mov_b32_e32 v27, v28
	v_or_b32_e32 v1, 0x60, v100
	v_lshl_add_u64 v[46:47], v[26:27], 3, v[38:39]
	v_mad_u64_u32 v[26:27], s[18:19], s8, v1, 0
	v_mov_b32_e32 v28, v27
	v_mad_u64_u32 v[28:29], s[18:19], s9, v1, v[28:29]
	v_mov_b32_e32 v27, v28
	v_add_u32_e32 v1, 0x98, v100
	v_lshl_add_u64 v[48:49], v[26:27], 3, v[38:39]
	v_mad_u64_u32 v[26:27], s[18:19], s8, v1, 0
	v_mov_b32_e32 v28, v27
	v_mad_u64_u32 v[28:29], s[18:19], s9, v1, v[28:29]
	v_mov_b32_e32 v27, v28
	v_lshl_add_u64 v[54:55], v[26:27], 3, v[38:39]
	global_load_dwordx2 v[32:33], v[40:41], off
	global_load_dwordx2 v[30:31], v[42:43], off
	;; [unrolled: 1-line block ×4, first 2 shown]
	v_mad_u64_u32 v[40:41], s[18:19], s8, v52, 0
	v_mov_b32_e32 v42, v41
	v_mad_u64_u32 v[42:43], s[18:19], s9, v52, v[42:43]
	v_mov_b32_e32 v41, v42
	v_add_u32_e32 v1, 0x68, v100
	v_lshl_add_u64 v[56:57], v[40:41], 3, v[38:39]
	v_mad_u64_u32 v[40:41], s[18:19], s8, v1, 0
	v_mov_b32_e32 v42, v41
	v_mad_u64_u32 v[42:43], s[18:19], s9, v1, v[42:43]
	v_mov_b32_e32 v41, v42
	v_or_b32_e32 v1, 0xa0, v100
	v_lshl_add_u64 v[58:59], v[40:41], 3, v[38:39]
	v_mad_u64_u32 v[40:41], s[18:19], s8, v1, 0
	v_mov_b32_e32 v42, v41
	v_mad_u64_u32 v[42:43], s[18:19], s9, v1, v[42:43]
	v_mov_b32_e32 v41, v42
	v_lshl_add_u64 v[60:61], v[40:41], 3, v[38:39]
	global_load_dwordx2 v[40:41], v[48:49], off
	global_load_dwordx2 v[38:39], v[54:55], off
	;; [unrolled: 1-line block ×5, first 2 shown]
	v_mov_b32_e32 v101, v50
	v_mov_b32_e32 v1, v35
	;; [unrolled: 1-line block ×4, first 2 shown]
.LBB0_9:
	s_or_b64 exec, exec, s[16:17]
.LBB0_10:
	s_waitcnt vmcnt(19)
	v_pk_add_f32 v[52:53], v[16:17], v[14:15]
	s_waitcnt vmcnt(18)
	v_pk_add_f32 v[50:51], v[14:15], v[12:13]
	v_pk_add_f32 v[52:53], v[52:53], v[12:13]
	v_pk_add_f32 v[12:13], v[14:15], v[12:13] neg_lo:[0,1] neg_hi:[0,1]
	s_mov_b32 s16, 0x3f5db3d7
	v_pk_fma_f32 v[16:17], v[50:51], 0.5, v[16:17] op_sel_hi:[1,0,1] neg_lo:[1,0,0] neg_hi:[1,0,0]
	v_pk_mul_f32 v[12:13], v[12:13], s[16:17] op_sel_hi:[1,0]
	v_mul_u32_u24_e32 v51, 0x240, v100
	v_lshlrev_b32_e32 v50, 3, v34
	v_pk_add_f32 v[14:15], v[16:17], v[12:13] op_sel:[0,1] op_sel_hi:[1,0] neg_lo:[0,1] neg_hi:[0,1]
	v_pk_add_f32 v[12:13], v[16:17], v[12:13] op_sel:[0,1] op_sel_hi:[1,0]
	v_add3_u32 v51, 0, v51, v50
	v_mov_b32_e32 v17, v13
	v_mov_b32_e32 v13, v15
	ds_write_b64 v51, v[12:13] offset:384
	s_waitcnt vmcnt(15)
	v_pk_add_f32 v[12:13], v[8:9], v[4:5]
	v_pk_add_f32 v[54:55], v[2:3], v[8:9]
	v_pk_fma_f32 v[2:3], v[12:13], 0.5, v[2:3] op_sel_hi:[1,0,1] neg_lo:[1,0,0] neg_hi:[1,0,0]
	v_mul_i32_i24_e32 v12, 0x240, v101
	v_add3_u32 v60, 0, v12, v50
	v_pk_add_f32 v[12:13], v[54:55], v[4:5]
	v_pk_add_f32 v[4:5], v[8:9], v[4:5] neg_lo:[0,1] neg_hi:[0,1]
	v_mov_b32_e32 v16, v14
	v_pk_mul_f32 v[4:5], v[4:5], s[16:17] op_sel_hi:[1,0]
	s_waitcnt vmcnt(13)
	v_pk_add_f32 v[56:57], v[10:11], v[6:7]
	v_pk_add_f32 v[8:9], v[2:3], v[4:5] op_sel:[0,1] op_sel_hi:[1,0] neg_lo:[0,1] neg_hi:[0,1]
	v_pk_add_f32 v[2:3], v[2:3], v[4:5] op_sel:[0,1] op_sel_hi:[1,0]
	v_mov_b32_e32 v4, v8
	v_mov_b32_e32 v5, v3
	ds_write2_b64 v51, v[52:53], v[16:17] offset1:24
	ds_write2_b64 v60, v[12:13], v[4:5] offset1:24
	s_waitcnt vmcnt(12)
	v_pk_add_f32 v[4:5], v[6:7], v[20:21]
	v_pk_add_f32 v[6:7], v[6:7], v[20:21] neg_lo:[0,1] neg_hi:[0,1]
	v_mov_b32_e32 v3, v9
	v_pk_fma_f32 v[4:5], v[4:5], 0.5, v[10:11] op_sel_hi:[1,0,1] neg_lo:[1,0,0] neg_hi:[1,0,0]
	v_pk_mul_f32 v[6:7], v[6:7], s[16:17] op_sel_hi:[1,0]
	ds_write_b64 v60, v[2:3] offset:384
	v_mul_i32_i24_e32 v2, 0x240, v1
	v_pk_add_f32 v[8:9], v[4:5], v[6:7] op_sel:[0,1] op_sel_hi:[1,0] neg_lo:[0,1] neg_hi:[0,1]
	v_pk_add_f32 v[4:5], v[4:5], v[6:7] op_sel:[0,1] op_sel_hi:[1,0]
	v_add3_u32 v12, 0, v2, v50
	v_pk_add_f32 v[2:3], v[56:57], v[20:21]
	v_mov_b32_e32 v6, v8
	v_mov_b32_e32 v7, v5
	v_mov_b32_e32 v5, v9
	ds_write2_b64 v12, v[2:3], v[6:7] offset1:24
	ds_write_b64 v12, v[4:5] offset:384
	s_waitcnt vmcnt(9)
	v_pk_add_f32 v[4:5], v[22:23], v[18:19]
	v_pk_add_f32 v[6:7], v[22:23], v[18:19] neg_lo:[0,1] neg_hi:[0,1]
	v_pk_fma_f32 v[4:5], v[4:5], 0.5, v[24:25] op_sel_hi:[1,0,1] neg_lo:[1,0,0] neg_hi:[1,0,0]
	v_pk_mul_f32 v[6:7], v[6:7], s[16:17] op_sel_hi:[1,0]
	v_pk_add_f32 v[58:59], v[24:25], v[22:23]
	v_mul_i32_i24_e32 v2, 0x240, v48
	v_pk_add_f32 v[8:9], v[4:5], v[6:7] op_sel:[0,1] op_sel_hi:[1,0] neg_lo:[0,1] neg_hi:[0,1]
	v_pk_add_f32 v[4:5], v[4:5], v[6:7] op_sel:[0,1] op_sel_hi:[1,0]
	v_add3_u32 v10, 0, v2, v50
	v_pk_add_f32 v[2:3], v[58:59], v[18:19]
	v_mov_b32_e32 v6, v8
	v_mov_b32_e32 v7, v5
	;; [unrolled: 1-line block ×3, first 2 shown]
	ds_write2_b64 v10, v[2:3], v[6:7] offset1:24
	ds_write_b64 v10, v[4:5] offset:384
	s_waitcnt vmcnt(6)
	v_pk_add_f32 v[4:5], v[30:31], v[28:29]
	v_pk_add_f32 v[6:7], v[30:31], v[28:29] neg_lo:[0,1] neg_hi:[0,1]
	v_pk_fma_f32 v[4:5], v[4:5], 0.5, v[32:33] op_sel_hi:[1,0,1] neg_lo:[1,0,0] neg_hi:[1,0,0]
	v_pk_mul_f32 v[6:7], v[6:7], s[16:17] op_sel_hi:[1,0]
	v_pk_add_f32 v[16:17], v[32:33], v[30:31]
	v_pk_add_f32 v[8:9], v[4:5], v[6:7] op_sel:[0,1] op_sel_hi:[1,0] neg_lo:[0,1] neg_hi:[0,1]
	v_pk_add_f32 v[4:5], v[4:5], v[6:7] op_sel:[0,1] op_sel_hi:[1,0]
	v_pk_add_f32 v[2:3], v[16:17], v[28:29]
	v_mov_b32_e32 v6, v8
	v_mov_b32_e32 v7, v5
	v_add_u32_e32 v5, 0x4800, v51
	ds_write2_b64 v5, v[2:3], v[6:7] offset1:24
	v_mov_b32_e32 v5, v9
	ds_write_b64 v51, v[4:5] offset:18816
	s_waitcnt vmcnt(3)
	v_pk_add_f32 v[4:5], v[40:41], v[38:39]
	v_pk_add_f32 v[6:7], v[40:41], v[38:39] neg_lo:[0,1] neg_hi:[0,1]
	v_pk_fma_f32 v[4:5], v[4:5], 0.5, v[26:27] op_sel_hi:[1,0,1] neg_lo:[1,0,0] neg_hi:[1,0,0]
	v_pk_mul_f32 v[6:7], v[6:7], s[16:17] op_sel_hi:[1,0]
	v_pk_add_f32 v[52:53], v[26:27], v[40:41]
	v_pk_add_f32 v[8:9], v[4:5], v[6:7] op_sel:[0,1] op_sel_hi:[1,0] neg_lo:[0,1] neg_hi:[0,1]
	v_pk_add_f32 v[4:5], v[4:5], v[6:7] op_sel:[0,1] op_sel_hi:[1,0]
	v_pk_add_f32 v[2:3], v[52:53], v[38:39]
	v_mov_b32_e32 v6, v8
	v_mov_b32_e32 v7, v5
	v_add_u32_e32 v5, 0x5800, v51
	ds_write2_b64 v5, v[2:3], v[6:7] offset0:64 offset1:88
	v_mov_b32_e32 v5, v9
	ds_write_b64 v51, v[4:5] offset:23424
	s_waitcnt vmcnt(0)
	v_pk_add_f32 v[4:5], v[44:45], v[42:43]
	v_pk_add_f32 v[6:7], v[44:45], v[42:43] neg_lo:[0,1] neg_hi:[0,1]
	v_pk_fma_f32 v[4:5], v[4:5], 0.5, v[46:47] op_sel_hi:[1,0,1] neg_lo:[1,0,0] neg_hi:[1,0,0]
	v_pk_mul_f32 v[6:7], v[6:7], s[16:17] op_sel_hi:[1,0]
	v_pk_add_f32 v[14:15], v[46:47], v[44:45]
	v_mul_i32_i24_e32 v2, 0x240, v49
	v_pk_add_f32 v[8:9], v[4:5], v[6:7] op_sel:[0,1] op_sel_hi:[1,0] neg_lo:[0,1] neg_hi:[0,1]
	v_pk_add_f32 v[4:5], v[4:5], v[6:7] op_sel:[0,1] op_sel_hi:[1,0]
	v_add3_u32 v11, 0, v2, v50
	v_pk_add_f32 v[2:3], v[14:15], v[42:43]
	v_mov_b32_e32 v6, v8
	v_mov_b32_e32 v7, v5
	ds_write2_b64 v11, v[2:3], v[6:7] offset1:24
	v_mul_lo_u16_e32 v2, 0x56, v100
	s_movk_i32 s16, 0xab
	v_lshrrev_b16_e32 v33, 8, v2
	v_mul_lo_u16_sdwa v3, v1, s16 dst_sel:DWORD dst_unused:UNUSED_PAD src0_sel:BYTE_0 src1_sel:DWORD
	v_mul_lo_u16_e32 v2, 3, v33
	v_lshrrev_b16_e32 v28, 9, v3
	v_sub_u16_e32 v2, v100, v2
	v_mul_lo_u16_e32 v3, 3, v28
	v_and_b32_e32 v38, 0xff, v2
	v_sub_u16_e32 v3, v1, v3
	v_mul_u32_u24_e32 v2, 6, v38
	v_and_b32_e32 v29, 0xff, v3
	v_mul_u32_u24_e32 v3, 6, v29
	v_lshlrev_b32_e32 v16, 3, v2
	v_mul_lo_u16_sdwa v2, v101, s16 dst_sel:DWORD dst_unused:UNUSED_PAD src0_sel:BYTE_0 src1_sel:DWORD
	v_mov_b32_e32 v5, v9
	v_lshlrev_b32_e32 v39, 3, v3
	v_lshrrev_b16_e32 v31, 9, v2
	ds_write_b64 v11, v[4:5] offset:384
	s_waitcnt lgkmcnt(0)
	s_barrier
	global_load_dwordx4 v[6:9], v39, s[14:15]
	global_load_dwordx4 v[12:15], v16, s[14:15]
	v_mul_lo_u16_e32 v2, 3, v31
	v_sub_u16_e32 v2, v101, v2
	v_and_b32_e32 v32, 0xff, v2
	v_mul_u32_u24_e32 v2, 6, v32
	v_lshlrev_b32_e32 v51, 3, v2
	global_load_dwordx4 v[24:27], v51, s[14:15]
	global_load_dwordx4 v[2:5], v39, s[14:15] offset:16
	global_load_dwordx4 v[40:43], v16, s[14:15] offset:32
	;; [unrolled: 1-line block ×3, first 2 shown]
	v_mul_u32_u24_e32 v16, 0xc0, v100
	v_add3_u32 v30, 0, v16, v50
	s_movk_i32 s16, 0xfe80
	ds_read2st64_b64 v[52:55], v30 offset1:12
	v_mad_i32_i24 v10, v48, s16, v10
	ds_read2st64_b64 v[56:59], v30 offset0:42 offset1:45
	ds_read2st64_b64 v[18:21], v30 offset0:15 offset1:21
	ds_read_b64 v[16:17], v10
	v_mad_i32_i24 v11, v49, s16, v11
	v_mul_i32_i24_e32 v22, 0xc0, v101
	v_add3_u32 v48, 0, v22, v50
	ds_read_b64 v[22:23], v11
	ds_read_b64 v[10:11], v48
	s_waitcnt lgkmcnt(2)
	v_mov_b32_e32 v62, v17
	s_mov_b32 s20, 0x3d64c772
	s_mov_b32 s21, 0x3f4a47b2
	;; [unrolled: 1-line block ×12, first 2 shown]
	s_waitcnt vmcnt(5)
	v_pk_mul_f32 v[60:61], v[18:19], v[6:7] op_sel_hi:[1,0]
	s_waitcnt vmcnt(4)
	v_pk_mul_f32 v[64:65], v[12:13], v[16:17] op_sel_hi:[1,0]
	s_nop 0
	v_pk_fma_f32 v[62:63], v[12:13], v[62:63], v[64:65] op_sel:[0,0,1] op_sel_hi:[1,1,0] neg_lo:[0,0,1] neg_hi:[0,0,1]
	v_pk_fma_f32 v[64:65], v[12:13], v[16:17], v[64:65] op_sel:[0,1,1] op_sel_hi:[1,1,0]
	s_waitcnt lgkmcnt(1)
	v_mov_b32_e32 v12, v23
	v_pk_mul_f32 v[16:17], v[22:23], v[14:15] op_sel_hi:[0,1]
	v_pk_fma_f32 v[66:67], v[12:13], v[14:15], v[16:17] op_sel:[0,0,1] op_sel_hi:[1,1,0] neg_lo:[0,0,1] neg_hi:[0,0,1]
	v_pk_fma_f32 v[68:69], v[22:23], v[14:15], v[16:17] op_sel:[1,0,1] op_sel_hi:[1,1,0]
	v_pk_fma_f32 v[22:23], v[18:19], v[6:7], v[60:61] op_sel:[0,1,1] op_sel_hi:[1,1,0]
	v_pk_fma_f32 v[18:19], v[18:19], v[6:7], v[60:61] op_sel:[0,1,1] op_sel_hi:[1,1,0] neg_lo:[1,0,0] neg_hi:[1,0,0]
	v_mov_b32_e32 v6, v21
	s_waitcnt vmcnt(3)
	v_pk_mul_f32 v[12:13], v[20:21], v[26:27] op_sel_hi:[0,1]
	v_pk_fma_f32 v[16:17], v[20:21], v[26:27], v[12:13] op_sel:[1,0,1] op_sel_hi:[1,1,0]
	v_mov_b32_e32 v14, v55
	v_pk_fma_f32 v[12:13], v[6:7], v[26:27], v[12:13] op_sel:[0,0,1] op_sel_hi:[1,1,0] neg_lo:[0,0,1] neg_hi:[0,0,1]
	v_pk_mul_f32 v[6:7], v[54:55], v[24:25] op_sel_hi:[0,1]
	v_pk_fma_f32 v[14:15], v[14:15], v[24:25], v[6:7] op_sel:[0,0,1] op_sel_hi:[1,1,0] neg_lo:[0,0,1] neg_hi:[0,0,1]
	v_pk_fma_f32 v[20:21], v[54:55], v[24:25], v[6:7] op_sel:[1,0,1] op_sel_hi:[1,1,0]
	s_waitcnt vmcnt(2)
	v_pk_mul_f32 v[6:7], v[56:57], v[4:5] op_sel_hi:[1,0]
	v_mov_b32_e32 v4, v5
	v_pk_fma_f32 v[26:27], v[56:57], v[4:5], v[6:7] op_sel:[0,0,1] op_sel_hi:[1,0,0]
	v_pk_fma_f32 v[24:25], v[56:57], v[4:5], v[6:7] op_sel:[0,0,1] op_sel_hi:[1,0,0] neg_lo:[1,0,0] neg_hi:[1,0,0]
	ds_read2st64_b64 v[4:7], v30 offset0:54 offset1:57
	v_mov_b32_e32 v16, v59
	s_waitcnt vmcnt(1)
	v_pk_mul_f32 v[54:55], v[58:59], v[40:41] op_sel_hi:[0,1]
	v_pk_fma_f32 v[58:59], v[58:59], v[40:41], v[54:55] op_sel:[1,0,1] op_sel_hi:[1,1,0]
	v_pk_fma_f32 v[60:61], v[16:17], v[40:41], v[54:55] op_sel:[0,0,1] op_sel_hi:[1,1,0] neg_lo:[0,0,1] neg_hi:[0,0,1]
	ds_read2st64_b64 v[54:57], v30 offset0:24 offset1:27
	s_waitcnt lgkmcnt(1)
	v_mov_b32_e32 v16, v5
	v_pk_mul_f32 v[40:41], v[4:5], v[42:43] op_sel_hi:[0,1]
	v_pk_fma_f32 v[70:71], v[16:17], v[42:43], v[40:41] op_sel:[0,0,1] op_sel_hi:[1,1,0] neg_lo:[0,0,1] neg_hi:[0,0,1]
	v_pk_fma_f32 v[72:73], v[4:5], v[42:43], v[40:41] op_sel:[1,0,1] op_sel_hi:[1,1,0]
	ds_read2st64_b64 v[40:43], v30 offset0:36 offset1:39
	s_waitcnt lgkmcnt(1)
	v_pk_mul_f32 v[4:5], v[54:55], v[8:9] op_sel_hi:[1,0]
	v_mov_b32_e32 v16, v9
	v_pk_fma_f32 v[8:9], v[54:55], v[16:17], v[4:5] op_sel:[0,0,1] op_sel_hi:[1,0,0]
	s_waitcnt vmcnt(0)
	v_pk_mul_f32 v[74:75], v[56:57], v[44:45] op_sel:[1,0] op_sel_hi:[0,1]
	v_mov_b32_e32 v8, v45
	v_pk_fma_f32 v[4:5], v[54:55], v[16:17], v[4:5] op_sel:[0,0,1] op_sel_hi:[1,0,0] neg_lo:[1,0,0] neg_hi:[1,0,0]
	v_pk_mul_f32 v[54:55], v[56:57], v[8:9] op_sel:[1,0] op_sel_hi:[0,1]
	v_mov_b32_e32 v8, v75
	v_pk_fma_f32 v[74:75], v[56:57], v[44:45], v[8:9] op_sel:[1,0,0] op_sel_hi:[0,1,1] neg_lo:[0,0,1] neg_hi:[0,0,1]
	v_pk_mul_f32 v[44:45], v[56:57], v[44:45]
	s_waitcnt lgkmcnt(0)
	v_pk_mul_f32 v[56:57], v[40:41], v[46:47] op_sel:[1,0] op_sel_hi:[0,1]
	v_mov_b32_e32 v8, v57
	v_pk_fma_f32 v[56:57], v[40:41], v[46:47], v[8:9] op_sel:[1,0,0] op_sel_hi:[0,1,1] neg_lo:[0,0,1] neg_hi:[0,0,1]
	v_mov_b32_e32 v8, v47
	v_pk_mul_f32 v[76:77], v[40:41], v[46:47]
	v_pk_mul_f32 v[40:41], v[40:41], v[8:9] op_sel:[1,0] op_sel_hi:[0,1]
	v_mov_b32_e32 v67, v69
	v_mov_b32_e32 v61, v59
	;; [unrolled: 1-line block ×7, first 2 shown]
	v_pk_add_f32 v[40:41], v[76:77], v[40:41]
	v_pk_add_f32 v[64:65], v[66:67], v[60:61]
	v_pk_add_f32 v[66:67], v[66:67], v[60:61] neg_lo:[0,1] neg_hi:[0,1]
	v_pk_add_f32 v[60:61], v[44:45], v[54:55]
	v_mov_b32_e32 v71, v73
	v_mov_b32_e32 v57, v40
	v_mov_b32_e32 v75, v60
	v_pk_add_f32 v[58:59], v[62:63], v[70:71]
	v_pk_add_f32 v[62:63], v[62:63], v[70:71] neg_lo:[0,1] neg_hi:[0,1]
	v_pk_add_f32 v[54:55], v[56:57], v[74:75] neg_lo:[0,1] neg_hi:[0,1]
	v_mov_b32_e32 v45, v63
	v_mov_b32_e32 v44, v54
	;; [unrolled: 1-line block ×4, first 2 shown]
	v_pk_add_f32 v[68:69], v[44:45], v[46:47] neg_lo:[0,1] neg_hi:[0,1]
	v_mov_b32_e32 v44, v62
	v_mov_b32_e32 v45, v55
	;; [unrolled: 1-line block ×4, first 2 shown]
	v_pk_add_f32 v[70:71], v[44:45], v[46:47] neg_lo:[0,1] neg_hi:[0,1]
	v_mov_b32_e32 v73, v74
	v_mov_b32_e32 v72, v65
	;; [unrolled: 1-line block ×3, first 2 shown]
	global_load_dwordx4 v[44:47], v51, s[14:15] offset:16
	v_mov_b32_e32 v56, v59
	v_pk_add_f32 v[56:57], v[72:73], v[56:57]
	v_pk_add_f32 v[72:73], v[60:61], v[40:41]
	v_pk_mul_f32 v[80:81], v[70:71], s[28:29]
	v_mov_b32_e32 v40, v72
	v_mov_b32_e32 v60, v72
	v_pk_add_f32 v[72:73], v[56:57], v[72:73]
	v_mov_b32_e32 v56, v59
	v_pk_add_f32 v[74:75], v[72:73], v[52:53]
	v_pk_add_f32 v[52:53], v[54:55], v[66:67]
	v_pk_add_f32 v[78:79], v[56:57], v[60:61] neg_lo:[0,1] neg_hi:[0,1]
	v_pk_add_f32 v[76:77], v[52:53], v[62:63]
	global_load_dwordx4 v[52:55], v51, s[14:15] offset:32
	v_pk_add_f32 v[62:63], v[66:67], v[62:63] neg_lo:[0,1] neg_hi:[0,1]
	v_mov_b32_e32 v66, v65
	v_mov_b32_e32 v67, v57
	v_mov_b32_e32 v60, v65
	v_pk_add_f32 v[64:65], v[40:41], v[66:67] neg_lo:[0,1] neg_hi:[0,1]
	v_mov_b32_e32 v40, v59
	global_load_dwordx4 v[56:59], v39, s[14:15] offset:32
	v_pk_add_f32 v[40:41], v[60:61], v[40:41] neg_lo:[0,1] neg_hi:[0,1]
	v_pk_mul_f32 v[60:61], v[68:69], s[22:23]
	v_pk_mul_f32 v[64:65], v[64:65], s[20:21]
	;; [unrolled: 1-line block ×3, first 2 shown]
	v_pk_fma_f32 v[66:67], v[72:73], s[24:25], v[74:75] op_sel_hi:[1,0,1] neg_lo:[1,0,0] neg_hi:[1,0,0]
	v_mov_b32_e32 v72, v68
	v_mov_b32_e32 v73, v65
	v_pk_fma_f32 v[78:79], v[78:79], s[30:31], v[64:65]
	v_mov_b32_e32 v65, v69
	v_pk_fma_f32 v[72:73], v[40:41], s[16:17], v[72:73] op_sel_hi:[1,0,1] neg_lo:[1,0,1] neg_hi:[1,0,1]
	v_mov_b32_e32 v82, v80
	v_mov_b32_e32 v83, v61
	v_pk_fma_f32 v[40:41], v[40:41], s[16:17], v[64:65] op_sel_hi:[1,0,1] neg_lo:[0,0,1] neg_hi:[0,0,1]
	v_pk_fma_f32 v[64:65], v[70:71], s[28:29], v[60:61]
	v_mov_b32_e32 v61, v81
	v_pk_fma_f32 v[82:83], v[62:63], s[26:27], v[82:83] op_sel_hi:[1,0,1] neg_lo:[1,0,1] neg_hi:[1,0,1]
	v_pk_fma_f32 v[60:61], v[62:63], s[26:27], v[60:61] op_sel_hi:[1,0,1] neg_lo:[0,0,1] neg_hi:[0,0,1]
	v_mul_i32_i24_e32 v8, 0xc0, v1
	v_pk_add_f32 v[72:73], v[72:73], v[66:67]
	v_pk_fma_f32 v[82:83], v[76:77], s[18:19], v[82:83] op_sel_hi:[1,0,1]
	v_pk_add_f32 v[40:41], v[40:41], v[66:67]
	v_pk_fma_f32 v[60:61], v[76:77], s[18:19], v[60:61] op_sel_hi:[1,0,1]
	v_mad_u32_u24 v5, v33, 21, v38
	v_add3_u32 v33, 0, v8, v50
	v_pk_add_f32 v[84:85], v[72:73], v[82:83]
	v_pk_add_f32 v[72:73], v[72:73], v[82:83] neg_lo:[0,1] neg_hi:[0,1]
	v_pk_add_f32 v[68:69], v[40:41], v[60:61] neg_lo:[0,1] neg_hi:[0,1]
	v_pk_add_f32 v[70:71], v[40:41], v[60:61]
	ds_read_b64 v[80:81], v33
	ds_read_b64 v[82:83], v30 offset:30720
	ds_read2st64_b64 v[38:41], v30 offset0:48 offset1:51
	ds_read2st64_b64 v[60:63], v30 offset0:30 offset1:33
	v_mul_u32_u24_e32 v5, 0xc0, v5
	v_add3_u32 v49, 0, v5, v50
	v_mov_b32_e32 v87, v71
	v_mov_b32_e32 v71, v69
	;; [unrolled: 1-line block ×4, first 2 shown]
	v_add_u32_e32 v5, 0x800, v49
	s_waitcnt lgkmcnt(0)
	s_barrier
	ds_write2_b64 v5, v[70:71], v[72:73] offset0:32 offset1:104
	v_pk_mul_f32 v[70:71], v[62:63], v[2:3] op_sel_hi:[1,0]
	v_mov_b32_e32 v25, v27
	v_pk_fma_f32 v[72:73], v[62:63], v[2:3], v[70:71] op_sel:[0,1,1] op_sel_hi:[1,1,0]
	v_pk_fma_f32 v[2:3], v[62:63], v[2:3], v[70:71] op_sel:[0,1,1] op_sel_hi:[1,1,0] neg_lo:[1,0,0] neg_hi:[1,0,0]
	v_mov_b32_e32 v13, v17
	v_mov_b32_e32 v3, v73
	v_pk_add_f32 v[26:27], v[2:3], v[24:25]
	v_pk_add_f32 v[2:3], v[24:25], v[2:3] neg_lo:[0,1] neg_hi:[0,1]
	v_mov_b32_e32 v15, v21
	v_mov_b32_e32 v5, v9
	;; [unrolled: 1-line block ×3, first 2 shown]
	v_pk_fma_f32 v[64:65], v[76:77], s[18:19], v[64:65] op_sel_hi:[1,0,1]
	v_mov_b32_e32 v88, v84
	v_mov_b32_e32 v86, v68
	ds_write2_b64 v49, v[88:89], v[86:87] offset0:144 offset1:216
	s_waitcnt vmcnt(2)
	v_mov_b32_e32 v8, v45
	v_pk_mul_f32 v[70:71], v[60:61], v[44:45] op_sel:[1,0] op_sel_hi:[0,1]
	v_pk_mul_f32 v[62:63], v[60:61], v[8:9] op_sel:[1,0] op_sel_hi:[0,1]
	v_mov_b32_e32 v8, v71
	v_pk_fma_f32 v[70:71], v[60:61], v[44:45], v[8:9] op_sel:[1,0,0] op_sel_hi:[0,1,1] neg_lo:[0,0,1] neg_hi:[0,0,1]
	v_pk_mul_f32 v[44:45], v[60:61], v[44:45]
	v_pk_mul_f32 v[60:61], v[42:43], v[46:47] op_sel:[1,0] op_sel_hi:[0,1]
	v_mov_b32_e32 v8, v61
	v_pk_fma_f32 v[60:61], v[42:43], v[46:47], v[8:9] op_sel:[1,0,0] op_sel_hi:[0,1,1] neg_lo:[0,0,1] neg_hi:[0,0,1]
	v_pk_mul_f32 v[90:91], v[42:43], v[46:47]
	v_mov_b32_e32 v8, v47
	v_pk_mul_f32 v[42:43], v[42:43], v[8:9] op_sel:[1,0] op_sel_hi:[0,1]
	v_mov_b32_e32 v8, v7
	s_waitcnt vmcnt(1)
	v_pk_mul_f32 v[46:47], v[6:7], v[54:55] op_sel_hi:[0,1]
	v_pk_fma_f32 v[6:7], v[6:7], v[54:55], v[46:47] op_sel:[1,0,1] op_sel_hi:[1,1,0]
	v_pk_fma_f32 v[46:47], v[8:9], v[54:55], v[46:47] op_sel:[0,0,1] op_sel_hi:[1,1,0] neg_lo:[0,0,1] neg_hi:[0,0,1]
	v_mov_b32_e32 v6, v39
	v_pk_mul_f32 v[54:55], v[38:39], v[52:53] op_sel_hi:[0,1]
	v_pk_fma_f32 v[92:93], v[6:7], v[52:53], v[54:55] op_sel:[0,0,1] op_sel_hi:[1,1,0] neg_lo:[0,0,1] neg_hi:[0,0,1]
	v_mov_b32_e32 v91, v14
	v_mov_b32_e32 v43, v46
	;; [unrolled: 1-line block ×4, first 2 shown]
	v_pk_fma_f32 v[38:39], v[38:39], v[52:53], v[54:55] op_sel:[1,0,1] op_sel_hi:[1,1,0]
	s_waitcnt vmcnt(0)
	v_pk_mul_f32 v[52:53], v[40:41], v[56:57] op_sel_hi:[1,0]
	v_pk_add_f32 v[16:17], v[90:91], v[42:43]
	v_pk_add_f32 v[24:25], v[44:45], v[62:63]
	v_pk_fma_f32 v[54:55], v[40:41], v[56:57], v[52:53] op_sel:[0,1,1] op_sel_hi:[1,1,0]
	v_pk_fma_f32 v[40:41], v[40:41], v[56:57], v[52:53] op_sel:[0,1,1] op_sel_hi:[1,1,0] neg_lo:[1,0,0] neg_hi:[1,0,0]
	v_pk_mul_f32 v[52:53], v[82:83], v[58:59] op_sel_hi:[1,0]
	v_mov_b32_e32 v6, v59
	v_mov_b32_e32 v93, v39
	;; [unrolled: 1-line block ×5, first 2 shown]
	v_pk_fma_f32 v[56:57], v[82:83], v[6:7], v[52:53] op_sel:[0,0,1] op_sel_hi:[1,0,0]
	v_pk_fma_f32 v[52:53], v[82:83], v[6:7], v[52:53] op_sel:[0,0,1] op_sel_hi:[1,0,0] neg_lo:[1,0,0] neg_hi:[1,0,0]
	v_mov_b32_e32 v41, v55
	v_pk_add_f32 v[6:7], v[14:15], v[46:47]
	v_pk_add_f32 v[14:15], v[14:15], v[46:47] neg_lo:[0,1] neg_hi:[0,1]
	v_pk_add_f32 v[20:21], v[12:13], v[92:93]
	v_pk_add_f32 v[12:13], v[12:13], v[92:93] neg_lo:[0,1] neg_hi:[0,1]
	v_pk_add_f32 v[38:39], v[60:61], v[70:71] neg_lo:[0,1] neg_hi:[0,1]
	v_pk_add_f32 v[22:23], v[4:5], v[40:41]
	v_pk_add_f32 v[4:5], v[4:5], v[40:41] neg_lo:[0,1] neg_hi:[0,1]
	v_mov_b32_e32 v40, v38
	v_mov_b32_e32 v41, v15
	;; [unrolled: 1-line block ×4, first 2 shown]
	v_pk_add_f32 v[40:41], v[40:41], v[42:43] neg_lo:[0,1] neg_hi:[0,1]
	v_mov_b32_e32 v42, v14
	v_mov_b32_e32 v44, v38
	;; [unrolled: 1-line block ×3, first 2 shown]
	v_pk_add_f32 v[42:43], v[42:43], v[44:45] neg_lo:[0,1] neg_hi:[0,1]
	v_mov_b32_e32 v44, v21
	v_mov_b32_e32 v45, v70
	;; [unrolled: 1-line block ×5, first 2 shown]
	v_pk_add_f32 v[44:45], v[44:45], v[46:47]
	v_pk_add_f32 v[46:47], v[24:25], v[16:17]
	;; [unrolled: 1-line block ×3, first 2 shown]
	v_pk_add_f32 v[18:19], v[18:19], v[52:53] neg_lo:[0,1] neg_hi:[0,1]
	v_mov_b32_e32 v16, v46
	v_mov_b32_e32 v52, v21
	;; [unrolled: 1-line block ×3, first 2 shown]
	v_pk_add_f32 v[52:53], v[16:17], v[52:53] neg_lo:[0,1] neg_hi:[0,1]
	v_mov_b32_e32 v54, v7
	v_mov_b32_e32 v55, v45
	v_mov_b32_e32 v24, v46
	v_mad_u32_u24 v6, v31, 21, v32
	v_pk_mul_f32 v[40:41], v[40:41], s[22:23]
	v_pk_add_f32 v[54:55], v[54:55], v[24:25] neg_lo:[0,1] neg_hi:[0,1]
	v_pk_add_f32 v[44:45], v[44:45], v[46:47]
	v_pk_mul_f32 v[46:47], v[52:53], s[20:21]
	v_mul_u32_u24_e32 v6, 0xc0, v6
	v_pk_fma_f32 v[52:53], v[54:55], s[30:31], v[46:47]
	v_pk_fma_f32 v[56:57], v[42:43], s[28:29], v[40:41]
	v_pk_mul_f32 v[42:43], v[42:43], s[28:29]
	v_pk_mul_f32 v[54:55], v[54:55], s[30:31]
	v_mov_b32_e32 v24, v21
	v_mov_b32_e32 v16, v7
	v_add3_u32 v31, 0, v6, v50
	v_pk_add_f32 v[38:39], v[38:39], v[12:13]
	v_pk_add_f32 v[10:11], v[44:45], v[10:11]
	v_pk_add_f32 v[12:13], v[12:13], v[14:15] neg_lo:[0,1] neg_hi:[0,1]
	v_pk_add_f32 v[6:7], v[24:25], v[16:17] neg_lo:[0,1] neg_hi:[0,1]
	v_mov_b32_e32 v16, v54
	v_mov_b32_e32 v17, v47
	v_mov_b32_e32 v20, v42
	v_mov_b32_e32 v21, v41
	v_mov_b32_e32 v47, v55
	v_mov_b32_e32 v41, v43
	v_pk_add_f32 v[38:39], v[38:39], v[14:15]
	v_pk_fma_f32 v[44:45], v[44:45], s[24:25], v[10:11] op_sel_hi:[1,0,1] neg_lo:[1,0,0] neg_hi:[1,0,0]
	v_pk_fma_f32 v[16:17], v[6:7], s[16:17], v[16:17] op_sel_hi:[1,0,1] neg_lo:[1,0,1] neg_hi:[1,0,1]
	;; [unrolled: 1-line block ×5, first 2 shown]
	v_pk_add_f32 v[58:59], v[78:79], v[66:67]
	v_pk_add_f32 v[16:17], v[16:17], v[44:45]
	v_pk_fma_f32 v[20:21], v[38:39], s[18:19], v[20:21] op_sel_hi:[1,0,1]
	v_pk_add_f32 v[6:7], v[6:7], v[44:45]
	v_pk_fma_f32 v[12:13], v[38:39], s[18:19], v[12:13] op_sel_hi:[1,0,1]
	v_pk_add_f32 v[66:67], v[58:59], v[64:65]
	v_pk_add_f32 v[58:59], v[58:59], v[64:65] neg_lo:[0,1] neg_hi:[0,1]
	v_pk_fma_f32 v[56:57], v[38:39], s[18:19], v[56:57] op_sel_hi:[1,0,1]
	v_pk_add_f32 v[24:25], v[16:17], v[20:21]
	v_pk_add_f32 v[16:17], v[16:17], v[20:21] neg_lo:[0,1] neg_hi:[0,1]
	v_pk_add_f32 v[38:39], v[6:7], v[12:13] neg_lo:[0,1] neg_hi:[0,1]
	v_pk_add_f32 v[6:7], v[6:7], v[12:13]
	v_mov_b32_e32 v64, v66
	v_mov_b32_e32 v65, v59
	v_mov_b32_e32 v59, v67
	v_mov_b32_e32 v42, v24
	v_mov_b32_e32 v43, v17
	v_mov_b32_e32 v12, v38
	v_mov_b32_e32 v13, v7
	ds_write2_b64 v49, v[74:75], v[64:65] offset1:72
	ds_write_b64 v49, v[58:59] offset:3456
	ds_write2_b64 v31, v[42:43], v[12:13] offset0:144 offset1:216
	v_mov_b32_e32 v7, v39
	v_mov_b32_e32 v17, v25
	v_add_u32_e32 v12, 0x800, v31
	v_pk_add_f32 v[52:53], v[52:53], v[44:45]
	ds_write2_b64 v12, v[6:7], v[16:17] offset0:32 offset1:104
	v_mad_u32_u24 v6, v28, 21, v29
	v_pk_add_f32 v[58:59], v[52:53], v[56:57]
	v_pk_add_f32 v[52:53], v[52:53], v[56:57] neg_lo:[0,1] neg_hi:[0,1]
	v_mul_u32_u24_e32 v6, 0xc0, v6
	v_mov_b32_e32 v56, v58
	v_mov_b32_e32 v57, v53
	v_add3_u32 v24, 0, v6, v50
	v_pk_add_f32 v[6:7], v[22:23], v[8:9] op_sel:[1,1] op_sel_hi:[0,0]
	ds_write2_b64 v31, v[10:11], v[56:57] offset1:72
	v_pk_add_f32 v[56:57], v[26:27], v[22:23] op_sel:[1,1] op_sel_hi:[0,0] neg_lo:[0,1] neg_hi:[0,1]
	v_pk_add_f32 v[14:15], v[2:3], v[4:5] neg_lo:[0,1] neg_hi:[0,1]
	v_pk_add_f32 v[6:7], v[26:27], v[6:7] op_sel:[1,0] op_sel_hi:[0,1]
	v_pk_add_f32 v[10:11], v[22:23], v[8:9] op_sel:[1,1] op_sel_hi:[0,0] neg_lo:[0,1] neg_hi:[0,1]
	v_pk_add_f32 v[20:21], v[4:5], v[18:19] neg_lo:[0,1] neg_hi:[0,1]
	v_pk_add_f32 v[4:5], v[2:3], v[4:5]
	v_pk_mul_f32 v[54:55], v[56:57], s[20:21] op_sel_hi:[1,0]
	v_pk_mul_f32 v[14:15], v[14:15], s[22:23] op_sel_hi:[1,0]
	v_pk_add_f32 v[12:13], v[6:7], v[80:81]
	v_pk_add_f32 v[4:5], v[4:5], v[18:19]
	v_pk_mul_f32 v[46:47], v[20:21], s[26:27] op_sel_hi:[1,0]
	v_pk_fma_f32 v[54:55], v[10:11], s[16:17], v[54:55] op_sel_hi:[1,0,1] neg_lo:[0,0,1] neg_hi:[0,0,1]
	v_pk_fma_f32 v[20:21], v[20:21], s[26:27], v[14:15] op_sel_hi:[1,0,1] neg_lo:[0,0,1] neg_hi:[0,0,1]
	;; [unrolled: 1-line block ×3, first 2 shown]
	v_pk_add_f32 v[8:9], v[8:9], v[26:27] op_sel:[1,1] op_sel_hi:[0,0] neg_lo:[0,1] neg_hi:[0,1]
	s_mov_b32 s22, s21
	v_pk_fma_f32 v[20:21], v[4:5], s[18:19], v[20:21] op_sel_hi:[1,0,1]
	v_pk_add_f32 v[16:17], v[54:55], v[6:7]
	v_pk_add_f32 v[2:3], v[18:19], v[2:3] neg_lo:[0,1] neg_hi:[0,1]
	v_pk_mul_f32 v[8:9], v[8:9], s[22:23] op_sel_hi:[1,0]
	s_mov_b32 s22, s23
	v_pk_add_f32 v[42:43], v[20:21], v[16:17]
	v_pk_add_f32 v[40:41], v[16:17], v[20:21] neg_lo:[0,1] neg_hi:[0,1]
	v_pk_fma_f32 v[16:17], v[56:57], s[20:21], v[8:9] op_sel_hi:[1,0,1]
	v_pk_fma_f32 v[14:15], v[2:3], s[22:23], v[14:15] op_sel_hi:[1,0,1]
	v_pk_fma_f32 v[8:9], v[10:11], s[16:17], v[8:9] op_sel_hi:[1,0,1] neg_lo:[1,0,1] neg_hi:[1,0,1]
	v_pk_fma_f32 v[2:3], v[2:3], s[22:23], v[46:47] op_sel_hi:[1,0,1] neg_lo:[1,0,1] neg_hi:[1,0,1]
	v_pk_add_f32 v[16:17], v[16:17], v[6:7]
	v_pk_fma_f32 v[2:3], v[4:5], s[18:19], v[2:3] op_sel_hi:[1,0,1]
	v_pk_add_f32 v[6:7], v[8:9], v[6:7]
	v_pk_fma_f32 v[10:11], v[4:5], s[18:19], v[14:15] op_sel_hi:[1,0,1]
	v_mov_b32_e32 v4, v2
	v_mov_b32_e32 v14, v3
	v_pk_add_f32 v[38:39], v[6:7], v[2:3]
	v_pk_add_f32 v[2:3], v[6:7], v[2:3] neg_lo:[0,1] neg_hi:[0,1]
	v_mov_b32_e32 v5, v10
	v_mov_b32_e32 v15, v11
	v_pk_add_f32 v[8:9], v[16:17], v[10:11]
	v_pk_add_f32 v[10:11], v[16:17], v[10:11] neg_lo:[0,1] neg_hi:[0,1]
	v_mov_b32_e32 v39, v3
	v_mov_b32_e32 v2, v6
	;; [unrolled: 1-line block ×5, first 2 shown]
	v_pk_add_f32 v[44:45], v[2:3], v[4:5] neg_lo:[0,1] neg_hi:[0,1]
	v_pk_add_f32 v[46:47], v[14:15], v[16:17]
	v_mov_b32_e32 v2, v40
	v_mov_b32_e32 v3, v43
	ds_write_b64 v31, v[52:53] offset:3456
	ds_write2_b64 v24, v[38:39], v[2:3] offset0:144 offset1:216
	v_mov_b32_e32 v2, v42
	v_mov_b32_e32 v3, v41
	;; [unrolled: 1-line block ×4, first 2 shown]
	v_add_u32_e32 v6, 0x800, v24
	ds_write2_b64 v6, v[2:3], v[4:5] offset0:32 offset1:104
	v_mov_b32_e32 v2, v45
	v_mov_b32_e32 v3, v47
	;; [unrolled: 1-line block ×3, first 2 shown]
	ds_write_b64 v24, v[2:3] offset:3456
	v_add_u32_e32 v2, 0x1c0, v30
	ds_write2_b64 v24, v[12:13], v[8:9] offset1:72
	s_waitcnt lgkmcnt(0)
	s_barrier
	ds_read2st64_b64 v[26:29], v2 offset0:7 offset1:10
	v_add_u32_e32 v2, 0x180, v30
	ds_read2st64_b64 v[22:25], v2 offset0:15 offset1:18
	v_add_u32_e32 v2, 0x140, v30
	;; [unrolled: 2-line block ×6, first 2 shown]
	ds_read2st64_b64 v[2:5], v2 offset0:55 offset1:58
	ds_read_b64 v[54:55], v30
	ds_read_b64 v[56:57], v48
	s_movk_i32 s16, 0x77
	v_cmp_lt_u32_e32 vcc, s16, v0
	s_and_saveexec_b64 s[16:17], vcc
	s_xor_b64 s[16:17], exec, s[16:17]
; %bb.11:
                                        ; implicit-def: $vgpr33
                                        ; implicit-def: $vgpr30
; %bb.12:
	s_or_saveexec_b64 s[16:17], s[16:17]
	s_movk_i32 s18, 0x78
                                        ; implicit-def: $vgpr52
                                        ; implicit-def: $vgpr50
                                        ; implicit-def: $vgpr48
	s_xor_b64 exec, exec, s[16:17]
	s_cbranch_execz .LBB0_14
; %bb.13:
	ds_read_b64 v[38:39], v33
	ds_read_b64 v[40:41], v30 offset:7104
	ds_read_b64 v[32:33], v30 offset:11136
	;; [unrolled: 1-line block ×7, first 2 shown]
	s_waitcnt lgkmcnt(5)
	v_mov_b32_e32 v42, v32
	v_mov_b32_e32 v43, v41
	s_waitcnt lgkmcnt(4)
	v_mov_b32_e32 v46, v45
	s_waitcnt lgkmcnt(3)
	v_mov_b32_e32 v47, v59
	v_mov_b32_e32 v41, v33
	;; [unrolled: 1-line block ×3, first 2 shown]
.LBB0_14:
	s_or_b64 exec, exec, s[16:17]
	v_and_b32_e32 v102, 0xffff, v100
	v_mul_u32_u24_e32 v30, 7, v102
	s_movk_i32 s19, 0x87
	v_lshlrev_b32_e32 v90, 3, v30
	v_mul_lo_u16_sdwa v30, v101, s19 dst_sel:DWORD dst_unused:UNUSED_PAD src0_sel:BYTE_0 src1_sel:DWORD
	v_sub_u16_sdwa v31, v101, v30 dst_sel:DWORD dst_unused:UNUSED_PAD src0_sel:DWORD src1_sel:BYTE_1
	v_lshrrev_b16_e32 v31, 1, v31
	v_and_b32_e32 v31, 0x7f, v31
	v_add_u16_sdwa v30, v31, v30 dst_sel:DWORD dst_unused:UNUSED_PAD src0_sel:DWORD src1_sel:BYTE_1
	v_lshrrev_b16_e32 v30, 4, v30
	v_and_b32_e32 v103, 15, v30
	v_mul_lo_u16_e32 v58, 21, v103
	global_load_dwordx4 v[30:33], v90, s[14:15] offset:144
	v_sub_u16_e32 v58, v101, v58
	v_and_b32_e32 v61, 0xff, v58
	v_mul_u32_u24_e32 v58, 7, v61
	v_lshlrev_b32_e32 v91, 3, v58
	global_load_dwordx4 v[62:65], v91, s[14:15] offset:144
	global_load_dwordx4 v[66:69], v90, s[14:15] offset:160
	;; [unrolled: 1-line block ×3, first 2 shown]
	s_load_dwordx2 s[16:17], s[0:1], 0x8
	v_mov_b32_e32 v60, 3
	v_mul_lo_u32 v58, v36, v102
	v_lshlrev_b32_sdwa v59, v60, v58 dst_sel:DWORD dst_unused:UNUSED_PAD src0_sel:DWORD src1_sel:BYTE_0
	v_lshlrev_b32_sdwa v58, v60, v58 dst_sel:DWORD dst_unused:UNUSED_PAD src0_sel:DWORD src1_sel:BYTE_1
	s_waitcnt lgkmcnt(0)
	global_load_dwordx2 v[78:79], v59, s[16:17]
	global_load_dwordx2 v[80:81], v58, s[16:17] offset:2048
	v_add_u32_e32 v105, 21, v102
	v_mul_lo_u32 v58, v36, v105
	v_lshlrev_b32_sdwa v59, v60, v58 dst_sel:DWORD dst_unused:UNUSED_PAD src0_sel:DWORD src1_sel:BYTE_0
	v_lshlrev_b32_sdwa v58, v60, v58 dst_sel:DWORD dst_unused:UNUSED_PAD src0_sel:DWORD src1_sel:BYTE_1
	v_add_u32_e32 v106, 42, v102
	global_load_dwordx2 v[82:83], v59, s[16:17]
	global_load_dwordx2 v[84:85], v58, s[16:17] offset:2048
	v_mul_lo_u32 v58, v36, v106
	v_add_u32_e32 v104, 63, v102
	v_lshlrev_b32_sdwa v74, v60, v58 dst_sel:DWORD dst_unused:UNUSED_PAD src0_sel:DWORD src1_sel:BYTE_0
	v_mul_lo_u32 v59, v36, v104
	v_lshlrev_b32_sdwa v58, v60, v58 dst_sel:DWORD dst_unused:UNUSED_PAD src0_sel:DWORD src1_sel:BYTE_1
	global_load_dwordx2 v[86:87], v74, s[16:17]
	global_load_dwordx2 v[88:89], v58, s[16:17] offset:2048
	v_lshlrev_b32_sdwa v92, v60, v59 dst_sel:DWORD dst_unused:UNUSED_PAD src0_sel:DWORD src1_sel:BYTE_0
	v_lshlrev_b32_sdwa v93, v60, v59 dst_sel:DWORD dst_unused:UNUSED_PAD src0_sel:DWORD src1_sel:BYTE_1
	v_add_u32_e32 v107, 0x54, v102
	v_add_u32_e32 v108, 0x69, v102
	v_cmp_gt_u32_e64 s[0:1], s18, v0
	v_mul_lo_u16_sdwa v0, v1, s19 dst_sel:DWORD dst_unused:UNUSED_PAD src0_sel:BYTE_0 src1_sel:DWORD
	v_add_u32_e32 v109, 0x7e, v102
	v_add_u32_e32 v110, 0x93, v102
	s_movk_i32 s18, 0x93
	s_andn2_b64 vcc, exec, s[2:3]
	s_waitcnt vmcnt(9)
	v_pk_mul_f32 v[74:75], v[30:31], v[26:27] op_sel:[0,1]
	v_pk_mul_f32 v[76:77], v[32:33], v[22:23] op_sel:[0,1]
	v_pk_fma_f32 v[58:59], v[30:31], v[26:27], v[74:75] op_sel:[0,0,1] op_sel_hi:[1,1,0]
	v_pk_fma_f32 v[30:31], v[30:31], v[26:27], v[74:75] op_sel:[0,0,1] op_sel_hi:[1,0,0] neg_lo:[1,0,0] neg_hi:[1,0,0]
	v_pk_fma_f32 v[26:27], v[32:33], v[22:23], v[76:77] op_sel:[0,0,1] op_sel_hi:[1,1,0]
	v_pk_fma_f32 v[32:33], v[32:33], v[22:23], v[76:77] op_sel:[0,0,1] op_sel_hi:[1,0,0] neg_lo:[1,0,0] neg_hi:[1,0,0]
	s_waitcnt vmcnt(8)
	v_mul_f32_e32 v30, v63, v29
	v_mul_f32_e32 v22, v63, v28
	v_fmac_f32_e32 v30, v62, v28
	v_fma_f32 v28, v62, v29, -v22
	v_mul_f32_e32 v29, v25, v65
	v_mul_f32_e32 v22, v24, v65
	v_fmac_f32_e32 v29, v24, v64
	v_fma_f32 v94, v25, v64, -v22
	s_waitcnt vmcnt(7)
	v_pk_mul_f32 v[24:25], v[66:67], v[14:15] op_sel:[0,1]
	v_pk_mul_f32 v[62:63], v[68:69], v[18:19] op_sel:[0,1]
	v_pk_fma_f32 v[22:23], v[66:67], v[14:15], v[24:25] op_sel:[0,0,1] op_sel_hi:[1,1,0]
	v_pk_fma_f32 v[24:25], v[66:67], v[14:15], v[24:25] op_sel:[0,0,1] op_sel_hi:[1,0,0] neg_lo:[1,0,0] neg_hi:[1,0,0]
	global_load_dwordx4 v[74:77], v91, s[14:15] offset:176
	v_pk_fma_f32 v[14:15], v[68:69], v[18:19], v[62:63] op_sel:[0,0,1] op_sel_hi:[1,1,0]
	s_waitcnt vmcnt(7)
	v_mul_f32_e32 v24, v17, v71
	v_pk_fma_f32 v[18:19], v[68:69], v[18:19], v[62:63] op_sel:[0,0,1] op_sel_hi:[1,0,0] neg_lo:[1,0,0] neg_hi:[1,0,0]
	global_load_dwordx2 v[66:67], v92, s[16:17]
	global_load_dwordx2 v[68:69], v93, s[16:17] offset:2048
	v_mul_f32_e32 v15, v16, v71
	v_fmac_f32_e32 v24, v16, v70
	v_mul_f32_e32 v16, v20, v73
	v_fma_f32 v18, v21, v72, -v16
	global_load_dwordx4 v[62:65], v90, s[14:15] offset:176
	v_mul_lo_u32 v16, v36, v107
	v_fma_f32 v92, v17, v70, -v15
	v_mul_f32_e32 v15, v21, v73
	v_lshlrev_b32_sdwa v23, v60, v16 dst_sel:DWORD dst_unused:UNUSED_PAD src0_sel:DWORD src1_sel:BYTE_0
	v_lshlrev_b32_sdwa v16, v60, v16 dst_sel:DWORD dst_unused:UNUSED_PAD src0_sel:DWORD src1_sel:BYTE_1
	v_fmac_f32_e32 v15, v20, v72
	global_load_dwordx2 v[16:17], v16, s[16:17] offset:2048
	s_waitcnt vmcnt(9)
	v_mul_f32_e32 v20, v79, v81
	v_mul_f32_e32 v81, v78, v81
	v_fma_f32 v78, v78, v80, -v20
	global_load_dwordx2 v[20:21], v23, s[16:17]
	global_load_dwordx2 v[70:71], v91, s[14:15] offset:192
	global_load_dwordx2 v[72:73], v90, s[14:15] offset:192
	v_fmac_f32_e32 v81, v79, v80
	s_waitcnt vmcnt(10)
	v_mul_f32_e32 v23, v83, v85
	v_mul_f32_e32 v79, v82, v85
	v_fma_f32 v80, v82, v84, -v23
	v_fmac_f32_e32 v79, v83, v84
	s_waitcnt vmcnt(8)
	v_mul_f32_e32 v23, v87, v89
	v_fma_f32 v83, v86, v88, -v23
	v_mov_b32_e32 v59, v31
	v_mul_f32_e32 v82, v86, v89
	v_fmac_f32_e32 v82, v87, v88
	s_waitcnt vmcnt(7)
	v_mul_f32_e32 v84, v9, v75
	v_mul_f32_e32 v23, v8, v75
	v_fmac_f32_e32 v84, v8, v74
	v_mul_f32_e32 v75, v13, v77
	s_waitcnt vmcnt(5)
	v_mul_f32_e32 v8, v67, v69
	v_mul_f32_e32 v27, v12, v77
	v_fma_f32 v74, v9, v74, -v23
	v_fma_f32 v77, v66, v68, -v8
	v_fmac_f32_e32 v75, v12, v76
	s_waitcnt vmcnt(4)
	v_pk_mul_f32 v[8:9], v[62:63], v[6:7] op_sel:[0,1]
	v_fma_f32 v76, v13, v76, -v27
	v_mul_f32_e32 v85, v66, v69
	v_pk_fma_f32 v[12:13], v[62:63], v[6:7], v[8:9] op_sel:[0,0,1] op_sel_hi:[1,1,0]
	v_pk_fma_f32 v[62:63], v[62:63], v[6:7], v[8:9] op_sel:[0,0,1] op_sel_hi:[1,0,0] neg_lo:[1,0,0] neg_hi:[1,0,0]
	v_pk_mul_f32 v[6:7], v[64:65], v[10:11] op_sel:[0,1]
	v_fmac_f32_e32 v85, v67, v68
	v_pk_fma_f32 v[66:67], v[64:65], v[10:11], v[6:7] op_sel:[0,0,1] op_sel_hi:[1,1,0]
	v_pk_fma_f32 v[10:11], v[64:65], v[10:11], v[6:7] op_sel:[0,0,1] op_sel_hi:[1,0,0] neg_lo:[1,0,0] neg_hi:[1,0,0]
	v_mul_lo_u32 v6, v36, v108
	s_waitcnt vmcnt(2)
	v_pk_mul_f32 v[68:69], v[20:21], v[16:17] op_sel:[1,0] op_sel_hi:[0,1]
	v_lshlrev_b32_sdwa v10, v60, v6 dst_sel:DWORD dst_unused:UNUSED_PAD src0_sel:DWORD src1_sel:BYTE_0
	s_waitcnt vmcnt(1)
	v_mul_f32_e32 v68, v5, v71
	v_lshlrev_b32_sdwa v13, v60, v6 dst_sel:DWORD dst_unused:UNUSED_PAD src0_sel:DWORD src1_sel:BYTE_1
	global_load_dwordx2 v[6:7], v10, s[16:17]
	global_load_dwordx2 v[8:9], v13, s[16:17] offset:2048
	v_mov_b32_e32 v10, v17
	v_fmac_f32_e32 v68, v4, v70
	v_mul_f32_e32 v4, v4, v71
	v_pk_mul_f32 v[64:65], v[20:21], v[10:11] op_sel:[1,0] op_sel_hi:[0,1]
	v_mov_b32_e32 v10, v69
	v_fma_f32 v69, v5, v70, -v4
	v_sub_u16_sdwa v4, v1, v0 dst_sel:DWORD dst_unused:UNUSED_PAD src0_sel:DWORD src1_sel:BYTE_1
	v_lshrrev_b16_e32 v4, 1, v4
	v_and_b32_e32 v4, 0x7f, v4
	v_add_u16_sdwa v0, v4, v0 dst_sel:DWORD dst_unused:UNUSED_PAD src0_sel:DWORD src1_sel:BYTE_1
	s_waitcnt vmcnt(2)
	v_pk_mul_f32 v[4:5], v[72:73], v[2:3] op_sel:[0,1]
	v_pk_fma_f32 v[64:65], v[20:21], v[16:17], v[64:65] neg_lo:[0,0,1] neg_hi:[0,0,1]
	v_pk_fma_f32 v[20:21], v[20:21], v[16:17], v[10:11] op_sel:[1,0,0] op_sel_hi:[0,1,1]
	v_mov_b32_e32 v67, v11
	v_pk_fma_f32 v[10:11], v[72:73], v[2:3], v[4:5] op_sel:[0,0,1] op_sel_hi:[1,1,0]
	v_pk_fma_f32 v[2:3], v[72:73], v[2:3], v[4:5] op_sel:[0,0,1] op_sel_hi:[1,0,0] neg_lo:[1,0,0] neg_hi:[1,0,0]
	v_mov_b32_e32 v27, v33
	v_sub_f32_e32 v70, v56, v15
	v_mov_b32_e32 v23, v25
	v_mov_b32_e32 v15, v19
	;; [unrolled: 1-line block ×4, first 2 shown]
	v_pk_add_f32 v[2:3], v[54:55], v[14:15] neg_lo:[0,1] neg_hi:[0,1]
	v_pk_add_f32 v[14:15], v[26:27], v[66:67] neg_lo:[0,1] neg_hi:[0,1]
	;; [unrolled: 1-line block ×4, first 2 shown]
	v_sub_f32_e32 v71, v57, v18
	v_pk_fma_f32 v[4:5], v[54:55], 2.0, v[2:3] op_sel_hi:[1,0,1] neg_lo:[0,0,1] neg_hi:[0,0,1]
	v_pk_fma_f32 v[16:17], v[26:27], 2.0, v[14:15] op_sel_hi:[1,0,1] neg_lo:[0,0,1] neg_hi:[0,0,1]
	;; [unrolled: 1-line block ×4, first 2 shown]
	v_add_f32_e32 v25, v2, v15
	v_sub_f32_e32 v26, v3, v14
	v_pk_add_f32 v[16:17], v[4:5], v[16:17] neg_lo:[0,1] neg_hi:[0,1]
	v_fma_f32 v27, v2, 2.0, -v25
	v_fma_f32 v32, v3, 2.0, -v26
	v_pk_add_f32 v[2:3], v[18:19], v[22:23] neg_lo:[0,1] neg_hi:[0,1]
	v_pk_fma_f32 v[4:5], v[4:5], 2.0, v[16:17] op_sel_hi:[1,0,1] neg_lo:[0,0,1] neg_hi:[0,0,1]
	v_pk_fma_f32 v[14:15], v[18:19], 2.0, v[2:3] op_sel_hi:[1,0,1] neg_lo:[0,0,1] neg_hi:[0,0,1]
	v_sub_f32_e32 v19, v13, v10
	v_add_f32_e32 v18, v12, v11
	v_fma_f32 v13, v13, 2.0, -v19
	v_pk_add_f32 v[10:11], v[4:5], v[14:15] neg_lo:[0,1] neg_hi:[0,1]
	v_fma_f32 v12, v12, 2.0, -v18
	v_fma_f32 v14, v4, 2.0, -v10
	v_fmamk_f32 v67, v13, 0xbf3504f3, v32
	v_mul_lo_u32 v4, v36, v109
	v_fmamk_f32 v66, v12, 0xbf3504f3, v27
	v_fmac_f32_e32 v67, 0xbf3504f3, v12
	v_lshlrev_b32_sdwa v12, v60, v4 dst_sel:DWORD dst_unused:UNUSED_PAD src0_sel:DWORD src1_sel:BYTE_0
	v_fma_f32 v15, v5, 2.0, -v11
	v_fmac_f32_e32 v66, 0x3f3504f3, v13
	v_lshlrev_b32_sdwa v13, v60, v4 dst_sel:DWORD dst_unused:UNUSED_PAD src0_sel:DWORD src1_sel:BYTE_1
	global_load_dwordx2 v[4:5], v12, s[16:17]
	global_load_dwordx2 v[22:23], v13, s[16:17] offset:2048
	v_sub_f32_e32 v73, v17, v2
	v_mul_lo_u32 v2, v36, v110
	v_lshlrev_b32_sdwa v12, v60, v2 dst_sel:DWORD dst_unused:UNUSED_PAD src0_sel:DWORD src1_sel:BYTE_0
	v_fma_f32 v58, v32, 2.0, -v67
	v_add_f32_e32 v72, v16, v3
	v_lshlrev_b32_sdwa v13, v60, v2 dst_sel:DWORD dst_unused:UNUSED_PAD src0_sel:DWORD src1_sel:BYTE_1
	global_load_dwordx2 v[2:3], v12, s[16:17]
	global_load_dwordx2 v[32:33], v13, s[16:17] offset:2048
	v_mul_f32_e32 v12, v15, v81
	v_fmac_f32_e32 v12, v14, v78
	v_mul_f32_e32 v13, v14, v81
	v_mul_lo_u32 v14, v36, v61
	v_fma_f32 v59, v16, 2.0, -v72
	v_lshlrev_b32_sdwa v16, v60, v14 dst_sel:DWORD dst_unused:UNUSED_PAD src0_sel:DWORD src1_sel:BYTE_0
	v_fma_f32 v31, v56, 2.0, -v70
	v_fma_f32 v86, v57, 2.0, -v71
	v_lshlrev_b32_sdwa v14, v60, v14 dst_sel:DWORD dst_unused:UNUSED_PAD src0_sel:DWORD src1_sel:BYTE_1
	global_load_dwordx2 v[54:55], v16, s[16:17]
	global_load_dwordx2 v[56:57], v14, s[16:17] offset:2048
	v_fmamk_f32 v87, v18, 0x3f3504f3, v25
	v_fmamk_f32 v88, v19, 0x3f3504f3, v26
	v_fmac_f32_e32 v87, 0x3f3504f3, v19
	v_fmac_f32_e32 v88, 0xbf3504f3, v18
	v_fma_f32 v13, v15, v78, -v13
	v_fma_f32 v15, v25, 2.0, -v87
	v_fma_f32 v25, v26, 2.0, -v88
	v_add_u32_e32 v26, 21, v61
	v_fma_f32 v27, v27, 2.0, -v66
	v_fma_f32 v17, v17, 2.0, -v73
	v_mul_f32_e32 v18, v58, v79
	v_mul_lo_u32 v26, v36, v26
	v_fmac_f32_e32 v18, v27, v80
	v_mul_f32_e32 v14, v27, v79
	v_mul_f32_e32 v16, v17, v82
	v_lshlrev_b32_sdwa v27, v60, v26 dst_sel:DWORD dst_unused:UNUSED_PAD src0_sel:DWORD src1_sel:BYTE_0
	v_fma_f32 v19, v58, v80, -v14
	v_fmac_f32_e32 v16, v59, v83
	v_mul_f32_e32 v14, v59, v82
	v_lshlrev_b32_sdwa v26, v60, v26 dst_sel:DWORD dst_unused:UNUSED_PAD src0_sel:DWORD src1_sel:BYTE_1
	global_load_dwordx2 v[58:59], v27, s[16:17]
	global_load_dwordx2 v[62:63], v26, s[16:17] offset:2048
	v_sub_f32_e32 v75, v29, v75
	v_sub_f32_e32 v76, v94, v76
	;; [unrolled: 1-line block ×6, first 2 shown]
	v_fma_f32 v26, v29, 2.0, -v75
	v_fma_f32 v27, v94, 2.0, -v76
	;; [unrolled: 1-line block ×6, first 2 shown]
	v_sub_f32_e32 v79, v31, v26
	v_sub_f32_e32 v80, v86, v27
	;; [unrolled: 1-line block ×4, first 2 shown]
	v_fma_f32 v26, v31, 2.0, -v79
	v_fma_f32 v27, v86, 2.0, -v80
	v_fma_f32 v24, v29, 2.0, -v81
	v_fma_f32 v28, v28, 2.0, -v82
	v_fma_f32 v17, v17, v83, -v14
	v_mul_f32_e32 v14, v25, v85
	v_sub_f32_e32 v83, v26, v24
	v_sub_f32_e32 v84, v27, v28
	v_pk_mul_f32 v[20:21], v[10:11], v[20:21] op_sel_hi:[1,0]
	v_fmac_f32_e32 v14, v15, v77
	v_mul_f32_e32 v15, v15, v85
	v_fma_f32 v85, v26, 2.0, -v83
	v_fma_f32 v29, v27, 2.0, -v84
	v_pk_fma_f32 v[26:27], v[10:11], v[64:65], v[20:21] op_sel:[0,0,1] op_sel_hi:[1,1,0]
	v_pk_fma_f32 v[10:11], v[10:11], v[64:65], v[20:21] op_sel:[0,0,1] op_sel_hi:[1,0,0] neg_lo:[0,0,1] neg_hi:[0,0,1]
	v_fma_f32 v15, v25, v77, -v15
	s_waitcnt vmcnt(8)
	v_mul_f32_e32 v10, v7, v9
	v_fma_f32 v10, v6, v8, -v10
	v_mul_f32_e32 v6, v6, v9
	v_fmac_f32_e32 v6, v7, v8
	v_mul_f32_e32 v24, v67, v6
	v_mul_f32_e32 v6, v66, v6
	v_fma_f32 v25, v67, v10, -v6
	v_mov_b32_e32 v27, v11
	v_fmac_f32_e32 v24, v66, v10
	s_waitcnt vmcnt(6)
	v_mul_f32_e32 v6, v5, v23
	v_fma_f32 v6, v4, v22, -v6
	v_mul_f32_e32 v4, v4, v23
	v_fmac_f32_e32 v4, v5, v22
	v_mul_f32_e32 v22, v73, v4
	v_mul_f32_e32 v4, v72, v4
	v_fma_f32 v23, v73, v6, -v4
	s_waitcnt vmcnt(4)
	v_mul_f32_e32 v4, v3, v33
	v_fmac_f32_e32 v22, v72, v6
	v_fma_f32 v6, v2, v32, -v4
	v_mul_f32_e32 v2, v2, v33
	v_fmac_f32_e32 v2, v3, v32
	v_mul_f32_e32 v20, v88, v2
	v_mul_f32_e32 v7, v87, v2
	v_add_u32_e32 v2, 42, v61
	v_mul_lo_u32 v2, v36, v2
	v_lshlrev_b32_sdwa v8, v60, v2 dst_sel:DWORD dst_unused:UNUSED_PAD src0_sel:DWORD src1_sel:BYTE_0
	v_fmac_f32_e32 v20, v87, v6
	v_lshlrev_b32_sdwa v9, v60, v2 dst_sel:DWORD dst_unused:UNUSED_PAD src0_sel:DWORD src1_sel:BYTE_1
	global_load_dwordx2 v[2:3], v8, s[16:17]
	global_load_dwordx2 v[4:5], v9, s[16:17] offset:2048
	v_fma_f32 v21, v88, v6, -v7
	v_add_u32_e32 v6, 63, v61
	v_mul_lo_u32 v6, v36, v6
	s_waitcnt vmcnt(4)
	v_mul_f32_e32 v10, v55, v57
	v_lshlrev_b32_sdwa v11, v60, v6 dst_sel:DWORD dst_unused:UNUSED_PAD src0_sel:DWORD src1_sel:BYTE_0
	v_lshlrev_b32_sdwa v28, v60, v6 dst_sel:DWORD dst_unused:UNUSED_PAD src0_sel:DWORD src1_sel:BYTE_1
	global_load_dwordx2 v[6:7], v11, s[16:17]
	global_load_dwordx2 v[8:9], v28, s[16:17] offset:2048
	v_fma_f32 v66, v54, v56, -v10
	v_add_u32_e32 v10, 0x54, v61
	v_mul_lo_u32 v10, v36, v10
	v_lshlrev_b32_sdwa v28, v60, v10 dst_sel:DWORD dst_unused:UNUSED_PAD src0_sel:DWORD src1_sel:BYTE_0
	v_lshlrev_b32_sdwa v32, v60, v10 dst_sel:DWORD dst_unused:UNUSED_PAD src0_sel:DWORD src1_sel:BYTE_1
	global_load_dwordx2 v[10:11], v28, s[16:17]
	global_load_dwordx2 v[30:31], v32, s[16:17] offset:2048
	v_add_u32_e32 v32, 0x69, v61
	v_mul_f32_e32 v67, v54, v57
	v_mul_lo_u32 v32, v36, v32
	v_fmac_f32_e32 v67, v55, v56
	v_lshlrev_b32_sdwa v56, v60, v32 dst_sel:DWORD dst_unused:UNUSED_PAD src0_sel:DWORD src1_sel:BYTE_0
	v_lshlrev_b32_sdwa v57, v60, v32 dst_sel:DWORD dst_unused:UNUSED_PAD src0_sel:DWORD src1_sel:BYTE_1
	global_load_dwordx2 v[32:33], v56, s[16:17]
	global_load_dwordx2 v[54:55], v57, s[16:17] offset:2048
	s_waitcnt vmcnt(8)
	v_mul_f32_e32 v56, v59, v63
	v_fma_f32 v72, v58, v62, -v56
	v_add_u32_e32 v56, 0x7e, v61
	v_mul_lo_u32 v56, v36, v56
	v_lshlrev_b32_sdwa v73, v60, v56 dst_sel:DWORD dst_unused:UNUSED_PAD src0_sel:DWORD src1_sel:BYTE_0
	v_lshlrev_b32_sdwa v77, v60, v56 dst_sel:DWORD dst_unused:UNUSED_PAD src0_sel:DWORD src1_sel:BYTE_1
	global_load_dwordx2 v[56:57], v73, s[16:17]
	global_load_dwordx2 v[64:65], v77, s[16:17] offset:2048
	v_mul_f32_e32 v73, v58, v63
	v_add_u32_e32 v58, 0x93, v61
	v_mul_lo_u32 v58, v36, v58
	v_lshlrev_b32_sdwa v61, v60, v58 dst_sel:DWORD dst_unused:UNUSED_PAD src0_sel:DWORD src1_sel:BYTE_0
	v_fmac_f32_e32 v73, v59, v62
	v_lshlrev_b32_sdwa v77, v60, v58 dst_sel:DWORD dst_unused:UNUSED_PAD src0_sel:DWORD src1_sel:BYTE_1
	global_load_dwordx2 v[58:59], v61, s[16:17]
	global_load_dwordx2 v[62:63], v77, s[16:17] offset:2048
	v_lshrrev_b16_e32 v0, 4, v0
	v_and_b32_e32 v0, 15, v0
	v_mul_f32_e32 v61, v85, v67
	v_mul_lo_u16_e32 v0, 21, v0
	v_mul_f32_e32 v28, v29, v67
	v_fma_f32 v29, v29, v66, -v61
	v_sub_u16_e32 v0, v1, v0
	v_add_f32_e32 v1, v70, v76
	v_sub_f32_e32 v61, v71, v75
	v_add_f32_e32 v69, v78, v69
	v_fma_f32 v67, v70, 2.0, -v1
	v_fma_f32 v70, v71, 2.0, -v61
	v_sub_f32_e32 v68, v74, v68
	v_fma_f32 v71, v78, 2.0, -v69
	v_fma_f32 v74, v74, 2.0, -v68
	v_fmamk_f32 v78, v71, 0xbf3504f3, v67
	v_and_b32_e32 v0, 0xff, v0
	v_fmac_f32_e32 v78, 0x3f3504f3, v74
	v_fmamk_f32 v86, v74, 0xbf3504f3, v70
	v_fmamk_f32 v87, v69, 0x3f3504f3, v1
	v_fmac_f32_e32 v86, 0xbf3504f3, v71
	v_fmac_f32_e32 v87, 0x3f3504f3, v68
	v_fmamk_f32 v88, v68, 0x3f3504f3, v61
	v_mul_u32_u24_e32 v68, 7, v0
	v_fma_f32 v67, v67, 2.0, -v78
	v_lshlrev_b32_e32 v111, 3, v68
	v_fma_f32 v68, v70, 2.0, -v86
	v_fmac_f32_e32 v28, v85, v66
	v_mul_f32_e32 v66, v67, v73
	v_fma_f32 v77, v68, v72, -v66
	v_add_f32_e32 v82, v79, v82
	v_sub_f32_e32 v81, v80, v81
	v_fmac_f32_e32 v88, 0xbf3504f3, v69
	v_fma_f32 v69, v79, 2.0, -v82
	v_fma_f32 v70, v80, 2.0, -v81
	;; [unrolled: 1-line block ×3, first 2 shown]
	v_mul_f32_e32 v76, v68, v73
	v_fma_f32 v1, v1, 2.0, -v87
	v_fmac_f32_e32 v76, v67, v72
	s_waitcnt vmcnt(10)
	v_mul_f32_e32 v66, v3, v5
	v_fma_f32 v66, v2, v4, -v66
	v_mul_f32_e32 v2, v2, v5
	v_fmac_f32_e32 v2, v3, v4
	v_mul_f32_e32 v74, v70, v2
	v_mul_f32_e32 v2, v69, v2
	v_fma_f32 v75, v70, v66, -v2
	s_waitcnt vmcnt(8)
	v_mul_f32_e32 v3, v6, v9
	v_mul_f32_e32 v2, v7, v9
	v_fmac_f32_e32 v3, v7, v8
	v_fma_f32 v2, v6, v8, -v2
	v_mul_f32_e32 v72, v61, v3
	v_fmac_f32_e32 v72, v1, v2
	v_mul_f32_e32 v1, v1, v3
	v_fma_f32 v73, v61, v2, -v1
	s_waitcnt vmcnt(6)
	v_mul_f32_e32 v2, v10, v31
	v_mul_f32_e32 v1, v11, v31
	v_fmac_f32_e32 v2, v11, v30
	v_fma_f32 v1, v10, v30, -v1
	v_mul_f32_e32 v70, v84, v2
	v_mul_f32_e32 v2, v83, v2
	v_fma_f32 v71, v84, v1, -v2
	s_waitcnt vmcnt(4)
	v_mul_f32_e32 v2, v32, v55
	v_fmac_f32_e32 v70, v83, v1
	v_mul_f32_e32 v1, v33, v55
	v_fmac_f32_e32 v2, v33, v54
	v_fma_f32 v1, v32, v54, -v1
	v_mul_f32_e32 v68, v86, v2
	v_mul_f32_e32 v2, v78, v2
	v_fmac_f32_e32 v74, v69, v66
	v_fma_f32 v69, v86, v1, -v2
	s_waitcnt vmcnt(2)
	v_mul_f32_e32 v2, v56, v65
	v_fmac_f32_e32 v68, v78, v1
	v_mul_f32_e32 v1, v57, v65
	v_fmac_f32_e32 v2, v57, v64
	v_fma_f32 v1, v56, v64, -v1
	v_mul_f32_e32 v66, v81, v2
	v_mul_f32_e32 v2, v82, v2
	v_fma_f32 v67, v81, v1, -v2
	s_waitcnt vmcnt(0)
	v_mul_f32_e32 v2, v58, v63
	v_fmac_f32_e32 v66, v82, v1
	v_mul_f32_e32 v1, v59, v63
	v_fmac_f32_e32 v2, v59, v62
	v_fma_f32 v1, v58, v62, -v1
	v_mul_f32_e32 v64, v88, v2
	v_mul_f32_e32 v2, v87, v2
	v_fmac_f32_e32 v64, v87, v1
	v_fma_f32 v65, v88, v1, -v2
	v_mul_lo_u32 v1, v36, v0
	v_add_u32_e32 v3, 21, v0
	v_lshlrev_b32_sdwa v2, v60, v1 dst_sel:DWORD dst_unused:UNUSED_PAD src0_sel:DWORD src1_sel:BYTE_0
	v_lshlrev_b32_sdwa v1, v60, v1 dst_sel:DWORD dst_unused:UNUSED_PAD src0_sel:DWORD src1_sel:BYTE_1
	v_mul_lo_u32 v3, v36, v3
	v_lshlrev_b32_sdwa v4, v60, v3 dst_sel:DWORD dst_unused:UNUSED_PAD src0_sel:DWORD src1_sel:BYTE_0
	v_lshlrev_b32_sdwa v3, v60, v3 dst_sel:DWORD dst_unused:UNUSED_PAD src0_sel:DWORD src1_sel:BYTE_1
	global_load_dwordx2 v[84:85], v2, s[16:17]
	global_load_dwordx2 v[86:87], v1, s[16:17] offset:2048
	global_load_dwordx2 v[80:81], v4, s[16:17]
	global_load_dwordx2 v[82:83], v3, s[16:17] offset:2048
	v_add_u32_e32 v1, 42, v0
	v_mul_lo_u32 v1, v36, v1
	v_add_u32_e32 v3, 63, v0
	v_lshlrev_b32_sdwa v2, v60, v1 dst_sel:DWORD dst_unused:UNUSED_PAD src0_sel:DWORD src1_sel:BYTE_0
	v_lshlrev_b32_sdwa v1, v60, v1 dst_sel:DWORD dst_unused:UNUSED_PAD src0_sel:DWORD src1_sel:BYTE_1
	v_mul_lo_u32 v3, v36, v3
	v_lshlrev_b32_sdwa v4, v60, v3 dst_sel:DWORD dst_unused:UNUSED_PAD src0_sel:DWORD src1_sel:BYTE_0
	v_lshlrev_b32_sdwa v3, v60, v3 dst_sel:DWORD dst_unused:UNUSED_PAD src0_sel:DWORD src1_sel:BYTE_1
	global_load_dwordx2 v[92:93], v2, s[16:17]
	global_load_dwordx2 v[94:95], v1, s[16:17] offset:2048
	global_load_dwordx2 v[88:89], v4, s[16:17]
	global_load_dwordx2 v[90:91], v3, s[16:17] offset:2048
	v_add_u32_e32 v1, 0x54, v0
	;; [unrolled: 12-line block ×3, first 2 shown]
	v_mul_lo_u32 v1, v36, v1
	v_add_u32_e32 v0, 0x93, v0
	v_lshlrev_b32_sdwa v62, v60, v1 dst_sel:DWORD dst_unused:UNUSED_PAD src0_sel:DWORD src1_sel:BYTE_0
	v_mul_lo_u32 v0, v36, v0
	v_lshlrev_b32_sdwa v63, v60, v1 dst_sel:DWORD dst_unused:UNUSED_PAD src0_sel:DWORD src1_sel:BYTE_1
	v_lshlrev_b32_sdwa v112, v60, v0 dst_sel:DWORD dst_unused:UNUSED_PAD src0_sel:DWORD src1_sel:BYTE_0
	v_lshlrev_b32_sdwa v113, v60, v0 dst_sel:DWORD dst_unused:UNUSED_PAD src0_sel:DWORD src1_sel:BYTE_1
	global_load_dwordx2 v[58:59], v62, s[16:17]
	global_load_dwordx2 v[60:61], v63, s[16:17] offset:2048
	global_load_dwordx2 v[54:55], v112, s[16:17]
	global_load_dwordx2 v[56:57], v113, s[16:17] offset:2048
	global_load_dwordx2 v[78:79], v111, s[14:15] offset:192
	global_load_dwordx4 v[0:3], v111, s[14:15] offset:176
	global_load_dwordx4 v[4:7], v111, s[14:15] offset:160
	;; [unrolled: 1-line block ×3, first 2 shown]
	s_cbranch_vccnz .LBB0_16
; %bb.15:
	v_mad_u64_u32 v[62:63], s[2:3], s4, v34, 0
	v_mov_b32_e32 v112, v63
	v_mad_u64_u32 v[112:113], s[2:3], s5, v34, v[112:113]
	v_mov_b32_e32 v63, v112
	;; [unrolled: 2-line block ×3, first 2 shown]
	v_mad_u64_u32 v[114:115], s[2:3], s9, v102, v[114:115]
	s_lshl_b64 s[2:3], s[6:7], 3
	s_add_u32 s2, s10, s2
	s_addc_u32 s3, s11, s3
	v_mov_b32_e32 v113, v114
	v_lshl_add_u64 v[62:63], v[62:63], 3, s[2:3]
	v_lshl_add_u64 v[112:113], v[112:113], 3, v[62:63]
	global_store_dwordx2 v[112:113], v[12:13], off
	v_mad_u64_u32 v[112:113], s[2:3], s8, v105, 0
	v_mov_b32_e32 v114, v113
	v_mad_u64_u32 v[114:115], s[2:3], s9, v105, v[114:115]
	v_mov_b32_e32 v113, v114
	v_lshl_add_u64 v[112:113], v[112:113], 3, v[62:63]
	global_store_dwordx2 v[112:113], v[18:19], off
	v_mad_u64_u32 v[112:113], s[2:3], s8, v106, 0
	v_mov_b32_e32 v114, v113
	v_mad_u64_u32 v[114:115], s[2:3], s9, v106, v[114:115]
	v_mov_b32_e32 v113, v114
	;; [unrolled: 6-line block ×7, first 2 shown]
	v_and_b32_e32 v107, 0xffff, v103
	v_lshl_add_u64 v[108:109], v[108:109], 3, v[62:63]
	v_mad_u32_u24 v107, v107, s18, v101
	global_store_dwordx2 v[108:109], v[20:21], off
	v_mad_u64_u32 v[108:109], s[2:3], s8, v107, 0
	v_mov_b32_e32 v110, v109
	v_mad_u64_u32 v[110:111], s[2:3], s9, v107, v[110:111]
	v_mov_b32_e32 v109, v110
	v_lshl_add_u64 v[108:109], v[108:109], 3, v[62:63]
	v_add_u32_e32 v111, 21, v107
	global_store_dwordx2 v[108:109], v[28:29], off
	v_mad_u64_u32 v[108:109], s[2:3], s8, v111, 0
	v_mov_b32_e32 v110, v109
	v_mad_u64_u32 v[110:111], s[2:3], s9, v111, v[110:111]
	v_mov_b32_e32 v109, v110
	v_lshl_add_u64 v[108:109], v[108:109], 3, v[62:63]
	v_add_u32_e32 v111, 42, v107
	;; [unrolled: 7-line block ×7, first 2 shown]
	global_store_dwordx2 v[108:109], v[66:67], off
	v_mad_u64_u32 v[108:109], s[2:3], s8, v107, 0
	v_mov_b32_e32 v110, v109
	v_mad_u64_u32 v[110:111], s[2:3], s9, v107, v[110:111]
	v_mov_b32_e32 v109, v110
	v_lshl_add_u64 v[108:109], v[108:109], 3, v[62:63]
	s_and_b64 s[2:3], s[0:1], exec
	global_store_dwordx2 v[108:109], v[64:65], off
	s_cbranch_execz .LBB0_17
	s_branch .LBB0_20
.LBB0_16:
	s_mov_b64 s[2:3], 0
                                        ; implicit-def: $vgpr62_vgpr63
.LBB0_17:
	v_cmp_gt_u64_e32 vcc, s[12:13], v[36:37]
                                        ; implicit-def: $vgpr62_vgpr63
	s_and_saveexec_b64 s[12:13], vcc
	s_cbranch_execz .LBB0_19
; %bb.18:
	v_mad_u64_u32 v[36:37], s[14:15], s4, v34, 0
	v_mov_b32_e32 v62, v37
	v_mad_u64_u32 v[62:63], s[4:5], s5, v34, v[62:63]
	v_mad_u64_u32 v[108:109], s[4:5], s8, v102, 0
	v_mov_b32_e32 v34, v109
	v_mov_b32_e32 v37, v62
	v_mad_u64_u32 v[62:63], s[4:5], s9, v102, v[34:35]
	s_lshl_b64 s[4:5], s[6:7], 3
	s_add_u32 s4, s10, s4
	s_addc_u32 s5, s11, s5
	v_mov_b32_e32 v109, v62
	v_lshl_add_u64 v[62:63], v[36:37], 3, s[4:5]
	v_lshl_add_u64 v[36:37], v[108:109], 3, v[62:63]
	global_store_dwordx2 v[36:37], v[12:13], off
	v_mad_u64_u32 v[12:13], s[4:5], s8, v105, 0
	v_mov_b32_e32 v34, v13
	v_mad_u64_u32 v[36:37], s[4:5], s9, v105, v[34:35]
	v_mov_b32_e32 v13, v36
	v_lshl_add_u64 v[12:13], v[12:13], 3, v[62:63]
	global_store_dwordx2 v[12:13], v[18:19], off
	v_mad_u64_u32 v[12:13], s[4:5], s8, v106, 0
	v_mov_b32_e32 v18, v13
	v_mad_u64_u32 v[18:19], s[4:5], s9, v106, v[18:19]
	v_mov_b32_e32 v13, v18
	;; [unrolled: 6-line block ×3, first 2 shown]
	v_lshl_add_u64 v[12:13], v[12:13], 3, v[62:63]
	global_store_dwordx2 v[12:13], v[14:15], off
	v_add_u32_e32 v15, 0x54, v102
	v_mad_u64_u32 v[12:13], s[4:5], s8, v15, 0
	v_mov_b32_e32 v14, v13
	v_mad_u64_u32 v[14:15], s[4:5], s9, v15, v[14:15]
	v_mov_b32_e32 v13, v14
	v_lshl_add_u64 v[12:13], v[12:13], 3, v[62:63]
	v_add_u32_e32 v15, 0x69, v102
	global_store_dwordx2 v[12:13], v[26:27], off
	v_mad_u64_u32 v[12:13], s[4:5], s8, v15, 0
	v_mov_b32_e32 v14, v13
	v_mad_u64_u32 v[14:15], s[4:5], s9, v15, v[14:15]
	v_mov_b32_e32 v13, v14
	v_lshl_add_u64 v[12:13], v[12:13], 3, v[62:63]
	v_add_u32_e32 v15, 0x7e, v102
	global_store_dwordx2 v[12:13], v[24:25], off
	;; [unrolled: 7-line block ×3, first 2 shown]
	v_mad_u64_u32 v[12:13], s[4:5], s8, v15, 0
	v_mov_b32_e32 v14, v13
	v_mad_u64_u32 v[14:15], s[4:5], s9, v15, v[14:15]
	v_mov_b32_e32 v13, v14
	v_lshl_add_u64 v[12:13], v[12:13], 3, v[62:63]
	s_movk_i32 s6, 0x93
	global_store_dwordx2 v[12:13], v[20:21], off
	v_and_b32_e32 v12, 0xffff, v103
	v_mad_u32_u24 v16, v12, s6, v101
	v_mad_u64_u32 v[12:13], s[4:5], s8, v16, 0
	v_mov_b32_e32 v14, v13
	v_mad_u64_u32 v[14:15], s[4:5], s9, v16, v[14:15]
	v_mov_b32_e32 v13, v14
	v_lshl_add_u64 v[12:13], v[12:13], 3, v[62:63]
	v_add_u32_e32 v15, 21, v16
	global_store_dwordx2 v[12:13], v[28:29], off
	v_mad_u64_u32 v[12:13], s[4:5], s8, v15, 0
	v_mov_b32_e32 v14, v13
	v_mad_u64_u32 v[14:15], s[4:5], s9, v15, v[14:15]
	v_mov_b32_e32 v13, v14
	v_lshl_add_u64 v[12:13], v[12:13], 3, v[62:63]
	v_add_u32_e32 v15, 42, v16
	global_store_dwordx2 v[12:13], v[76:77], off
	;; [unrolled: 7-line block ×7, first 2 shown]
	v_mad_u64_u32 v[12:13], s[4:5], s8, v15, 0
	v_mov_b32_e32 v14, v13
	v_mad_u64_u32 v[14:15], s[4:5], s9, v15, v[14:15]
	v_mov_b32_e32 v13, v14
	s_andn2_b64 s[2:3], s[2:3], exec
	s_and_b64 s[0:1], s[0:1], exec
	v_lshl_add_u64 v[12:13], v[12:13], 3, v[62:63]
	s_or_b64 s[2:3], s[2:3], s[0:1]
	global_store_dwordx2 v[12:13], v[64:65], off
.LBB0_19:
	s_or_b64 exec, exec, s[12:13]
.LBB0_20:
	s_and_saveexec_b64 s[0:1], s[2:3]
	s_cbranch_execnz .LBB0_22
; %bb.21:
	s_endpgm
.LBB0_22:
	s_waitcnt vmcnt(0)
	v_pk_mul_f32 v[16:17], v[42:43], v[8:9] op_sel:[1,0]
	v_mul_f32_e32 v12, v85, v87
	v_pk_fma_f32 v[18:19], v[40:41], v[8:9], v[16:17] op_sel:[0,0,1] op_sel_hi:[1,1,0]
	v_pk_fma_f32 v[8:9], v[40:41], v[8:9], v[16:17] op_sel:[0,0,1] op_sel_hi:[0,1,0] neg_lo:[1,0,0] neg_hi:[1,0,0]
	v_mov_b32_e32 v19, v9
	v_pk_mul_f32 v[8:9], v[40:41], v[10:11] op_sel:[1,0]
	v_mul_f32_e32 v21, v84, v87
	v_pk_fma_f32 v[16:17], v[42:43], v[10:11], v[8:9] op_sel:[0,0,1] op_sel_hi:[1,1,0]
	v_pk_fma_f32 v[8:9], v[42:43], v[10:11], v[8:9] op_sel:[0,0,1] op_sel_hi:[0,1,0] neg_lo:[1,0,0] neg_hi:[1,0,0]
	v_mov_b32_e32 v17, v9
	v_pk_mul_f32 v[8:9], v[46:47], v[4:5] op_sel_hi:[0,1]
	v_pk_fma_f32 v[10:11], v[44:45], v[4:5], v[8:9] op_sel:[0,0,1] op_sel_hi:[1,1,0]
	v_pk_fma_f32 v[4:5], v[44:45], v[4:5], v[8:9] op_sel:[0,0,1] op_sel_hi:[0,1,0] neg_lo:[1,0,0] neg_hi:[1,0,0]
	v_mov_b32_e32 v11, v5
	v_pk_mul_f32 v[4:5], v[46:47], v[6:7] op_sel:[1,0]
	v_fma_f32 v20, v84, v86, -v12
	v_pk_fma_f32 v[8:9], v[44:45], v[6:7], v[4:5] op_sel:[1,0,1] op_sel_hi:[1,1,0]
	v_pk_fma_f32 v[4:5], v[44:45], v[6:7], v[4:5] op_sel:[1,0,1] op_sel_hi:[1,1,0] neg_lo:[1,0,0] neg_hi:[1,0,0]
	v_fmac_f32_e32 v21, v85, v86
	v_mov_b32_e32 v4, v53
	v_mov_b32_e32 v9, v5
	v_pk_mul_f32 v[4:5], v[4:5], v[0:1] op_sel_hi:[0,1]
	v_pk_fma_f32 v[6:7], v[52:53], v[0:1], v[4:5] op_sel:[0,0,1] op_sel_hi:[1,1,0]
	v_pk_fma_f32 v[0:1], v[52:53], v[0:1], v[4:5] op_sel:[0,0,1] op_sel_hi:[0,1,0] neg_lo:[1,0,0] neg_hi:[1,0,0]
	v_mov_b32_e32 v0, v51
	v_mov_b32_e32 v7, v1
	v_pk_mul_f32 v[0:1], v[0:1], v[2:3] op_sel_hi:[0,1]
	v_pk_fma_f32 v[4:5], v[50:51], v[2:3], v[0:1] op_sel:[0,0,1] op_sel_hi:[1,1,0]
	v_pk_fma_f32 v[0:1], v[50:51], v[2:3], v[0:1] op_sel:[0,0,1] op_sel_hi:[0,1,0] neg_lo:[1,0,0] neg_hi:[1,0,0]
	;; [unrolled: 5-line block ×3, first 2 shown]
	v_mov_b32_e32 v3, v1
	v_pk_add_f32 v[0:1], v[38:39], v[8:9] neg_lo:[0,1] neg_hi:[0,1]
	v_pk_add_f32 v[4:5], v[16:17], v[4:5] neg_lo:[0,1] neg_hi:[0,1]
	;; [unrolled: 1-line block ×4, first 2 shown]
	v_pk_fma_f32 v[18:19], v[18:19], 2.0, v[6:7] op_sel_hi:[1,0,1] neg_lo:[0,0,1] neg_hi:[0,0,1]
	v_pk_fma_f32 v[10:11], v[10:11], 2.0, v[2:3] op_sel_hi:[1,0,1] neg_lo:[0,0,1] neg_hi:[0,0,1]
	v_add_f32_e32 v28, v0, v5
	v_sub_f32_e32 v29, v1, v4
	v_pk_fma_f32 v[8:9], v[38:39], 2.0, v[0:1] op_sel_hi:[1,0,1] neg_lo:[0,0,1] neg_hi:[0,0,1]
	v_pk_fma_f32 v[16:17], v[16:17], 2.0, v[4:5] op_sel_hi:[1,0,1] neg_lo:[0,0,1] neg_hi:[0,0,1]
	v_fma_f32 v34, v0, 2.0, -v28
	v_fma_f32 v36, v1, 2.0, -v29
	v_pk_add_f32 v[0:1], v[18:19], v[10:11] neg_lo:[0,1] neg_hi:[0,1]
	v_sub_f32_e32 v11, v7, v2
	v_pk_add_f32 v[16:17], v[8:9], v[16:17] neg_lo:[0,1] neg_hi:[0,1]
	v_add_f32_e32 v10, v6, v3
	v_fma_f32 v7, v7, 2.0, -v11
	v_pk_fma_f32 v[8:9], v[8:9], 2.0, v[16:17] op_sel_hi:[1,0,1] neg_lo:[0,0,1] neg_hi:[0,0,1]
	v_pk_fma_f32 v[4:5], v[18:19], 2.0, v[0:1] op_sel_hi:[1,0,1] neg_lo:[0,0,1] neg_hi:[0,0,1]
	v_fma_f32 v6, v6, 2.0, -v10
	v_fmamk_f32 v19, v7, 0xbf3504f3, v36
	v_pk_add_f32 v[2:3], v[8:9], v[4:5] neg_lo:[0,1] neg_hi:[0,1]
	v_fmamk_f32 v18, v6, 0xbf3504f3, v34
	v_fmac_f32_e32 v19, 0xbf3504f3, v6
	v_mul_f32_e32 v12, v81, v83
	v_mul_f32_e32 v23, v80, v83
	v_fma_f32 v4, v8, 2.0, -v2
	v_fma_f32 v5, v9, 2.0, -v3
	v_fmac_f32_e32 v18, 0x3f3504f3, v7
	v_fma_f32 v7, v36, 2.0, -v19
	v_sub_f32_e32 v36, v17, v0
	v_fma_f32 v22, v80, v82, -v12
	v_fmac_f32_e32 v23, v81, v82
	v_mul_f32_e32 v12, v93, v95
	v_mul_f32_e32 v25, v92, v95
	v_fma_f32 v6, v34, 2.0, -v18
	v_add_f32_e32 v34, v16, v1
	v_fma_f32 v9, v17, 2.0, -v36
	v_fmamk_f32 v17, v10, 0x3f3504f3, v28
	v_fmamk_f32 v37, v11, 0x3f3504f3, v29
	v_mul_f32_e32 v0, v5, v21
	v_mul_f32_e32 v1, v4, v21
	v_fma_f32 v24, v92, v94, -v12
	v_fmac_f32_e32 v25, v93, v94
	v_mul_f32_e32 v12, v89, v91
	v_mul_f32_e32 v27, v88, v91
	v_pk_mul_f32 v[14:15], v[96:97], v[98:99] op_sel:[1,0] op_sel_hi:[0,1]
	v_fma_f32 v8, v16, 2.0, -v34
	v_fmac_f32_e32 v17, 0x3f3504f3, v11
	v_fmac_f32_e32 v37, 0xbf3504f3, v10
	v_fmac_f32_e32 v0, v4, v20
	v_fma_f32 v1, v5, v20, -v1
	v_mul_f32_e32 v4, v7, v23
	v_mul_f32_e32 v5, v6, v23
	v_fma_f32 v26, v88, v90, -v12
	v_fmac_f32_e32 v27, v89, v90
	v_mov_b32_e32 v12, v99
	v_mov_b32_e32 v14, v15
	v_fma_f32 v10, v28, 2.0, -v17
	v_fma_f32 v11, v29, 2.0, -v37
	v_fmac_f32_e32 v4, v6, v22
	v_fma_f32 v5, v7, v22, -v5
	v_mul_f32_e32 v6, v9, v25
	v_mul_f32_e32 v7, v8, v25
	v_pk_mul_f32 v[12:13], v[96:97], v[12:13] op_sel:[1,0] op_sel_hi:[0,1]
	v_pk_fma_f32 v[14:15], v[96:97], v[98:99], v[14:15] op_sel:[1,0,0] op_sel_hi:[0,1,1]
	v_fmac_f32_e32 v6, v8, v24
	v_fma_f32 v7, v9, v24, -v7
	v_mul_f32_e32 v8, v11, v27
	v_mul_f32_e32 v9, v10, v27
	v_pk_fma_f32 v[12:13], v[96:97], v[98:99], v[12:13] neg_lo:[0,0,1] neg_hi:[0,0,1]
	v_fmac_f32_e32 v8, v10, v26
	v_fma_f32 v9, v11, v26, -v9
	v_pk_mul_f32 v[10:11], v[2:3], v[14:15] op_sel_hi:[1,0]
	s_nop 0
	v_pk_fma_f32 v[14:15], v[2:3], v[12:13], v[10:11] op_sel:[0,0,1] op_sel_hi:[1,1,0]
	v_pk_fma_f32 v[2:3], v[2:3], v[12:13], v[10:11] op_sel:[0,0,1] op_sel_hi:[1,0,0] neg_lo:[0,0,1] neg_hi:[0,0,1]
	v_mul_f32_e32 v11, v30, v33
	v_mul_f32_e32 v2, v31, v33
	v_fmac_f32_e32 v11, v31, v32
	v_fma_f32 v2, v30, v32, -v2
	v_mul_f32_e32 v10, v19, v11
	v_mul_f32_e32 v11, v18, v11
	;; [unrolled: 1-line block ×3, first 2 shown]
	v_fmac_f32_e32 v10, v18, v2
	v_fma_f32 v11, v19, v2, -v11
	v_mul_f32_e32 v2, v59, v61
	v_fmac_f32_e32 v13, v59, v60
	v_fma_f32 v2, v58, v60, -v2
	v_mul_f32_e32 v12, v36, v13
	v_mul_f32_e32 v13, v34, v13
	;; [unrolled: 1-line block ×3, first 2 shown]
	v_fmac_f32_e32 v12, v34, v2
	v_fma_f32 v13, v36, v2, -v13
	v_mul_f32_e32 v2, v55, v57
	v_fmac_f32_e32 v15, v55, v56
	v_fma_f32 v2, v54, v56, -v2
	v_mul_f32_e32 v16, v37, v15
	v_mul_f32_e32 v15, v17, v15
	v_mad_u64_u32 v[18:19], s[0:1], s8, v35, 0
	v_fmac_f32_e32 v16, v17, v2
	v_fma_f32 v17, v37, v2, -v15
	v_mov_b32_e32 v2, v19
	v_mad_u64_u32 v[20:21], s[0:1], s9, v35, v[2:3]
	v_mov_b32_e32 v19, v20
	v_lshl_add_u64 v[18:19], v[18:19], 3, v[62:63]
	v_add_u32_e32 v15, 37, v100
	global_store_dwordx2 v[18:19], v[0:1], off
	v_mad_u64_u32 v[0:1], s[0:1], s8, v15, 0
	v_mov_b32_e32 v2, v1
	v_mad_u64_u32 v[18:19], s[0:1], s9, v15, v[2:3]
	v_mov_b32_e32 v1, v18
	v_lshl_add_u64 v[0:1], v[0:1], 3, v[62:63]
	global_store_dwordx2 v[0:1], v[4:5], off
	v_add_u32_e32 v4, 58, v100
	v_mad_u64_u32 v[0:1], s[0:1], s8, v4, 0
	v_mov_b32_e32 v2, v1
	v_mad_u64_u32 v[4:5], s[0:1], s9, v4, v[2:3]
	v_mov_b32_e32 v1, v4
	v_lshl_add_u64 v[0:1], v[0:1], 3, v[62:63]
	v_add_u32_e32 v4, 0x4f, v100
	global_store_dwordx2 v[0:1], v[6:7], off
	v_mad_u64_u32 v[0:1], s[0:1], s8, v4, 0
	v_mov_b32_e32 v2, v1
	v_mad_u64_u32 v[4:5], s[0:1], s9, v4, v[2:3]
	v_mov_b32_e32 v1, v4
	v_lshl_add_u64 v[0:1], v[0:1], 3, v[62:63]
	v_add_u32_e32 v4, 0x64, v100
	global_store_dwordx2 v[0:1], v[8:9], off
	v_mad_u64_u32 v[0:1], s[0:1], s8, v4, 0
	v_mov_b32_e32 v2, v1
	v_mad_u64_u32 v[4:5], s[0:1], s9, v4, v[2:3]
	v_mov_b32_e32 v1, v4
	v_lshl_add_u64 v[0:1], v[0:1], 3, v[62:63]
	v_mov_b32_e32 v15, v3
	v_add_u32_e32 v3, 0x79, v100
	global_store_dwordx2 v[0:1], v[14:15], off
	v_mad_u64_u32 v[0:1], s[0:1], s8, v3, 0
	v_mov_b32_e32 v2, v1
	v_mad_u64_u32 v[2:3], s[0:1], s9, v3, v[2:3]
	v_mov_b32_e32 v1, v2
	v_lshl_add_u64 v[0:1], v[0:1], 3, v[62:63]
	v_add_u32_e32 v3, 0x8e, v100
	global_store_dwordx2 v[0:1], v[10:11], off
	v_mad_u64_u32 v[0:1], s[0:1], s8, v3, 0
	v_mov_b32_e32 v2, v1
	v_mad_u64_u32 v[2:3], s[0:1], s9, v3, v[2:3]
	v_mov_b32_e32 v1, v2
	v_lshl_add_u64 v[0:1], v[0:1], 3, v[62:63]
	;; [unrolled: 7-line block ×3, first 2 shown]
	global_store_dwordx2 v[0:1], v[16:17], off
	s_endpgm
	.section	.rodata,"a",@progbits
	.p2align	6, 0x0
	.amdhsa_kernel fft_rtc_back_len168_factors_3_7_8_wgs_192_tpt_8_dim2_sp_ip_CI_sbcc_twdbase8_2step_dirReg
		.amdhsa_group_segment_fixed_size 0
		.amdhsa_private_segment_fixed_size 0
		.amdhsa_kernarg_size 88
		.amdhsa_user_sgpr_count 2
		.amdhsa_user_sgpr_dispatch_ptr 0
		.amdhsa_user_sgpr_queue_ptr 0
		.amdhsa_user_sgpr_kernarg_segment_ptr 1
		.amdhsa_user_sgpr_dispatch_id 0
		.amdhsa_user_sgpr_kernarg_preload_length 0
		.amdhsa_user_sgpr_kernarg_preload_offset 0
		.amdhsa_user_sgpr_private_segment_size 0
		.amdhsa_uses_dynamic_stack 0
		.amdhsa_enable_private_segment 0
		.amdhsa_system_sgpr_workgroup_id_x 1
		.amdhsa_system_sgpr_workgroup_id_y 0
		.amdhsa_system_sgpr_workgroup_id_z 0
		.amdhsa_system_sgpr_workgroup_info 0
		.amdhsa_system_vgpr_workitem_id 0
		.amdhsa_next_free_vgpr 116
		.amdhsa_next_free_sgpr 32
		.amdhsa_accum_offset 116
		.amdhsa_reserve_vcc 1
		.amdhsa_float_round_mode_32 0
		.amdhsa_float_round_mode_16_64 0
		.amdhsa_float_denorm_mode_32 3
		.amdhsa_float_denorm_mode_16_64 3
		.amdhsa_dx10_clamp 1
		.amdhsa_ieee_mode 1
		.amdhsa_fp16_overflow 0
		.amdhsa_tg_split 0
		.amdhsa_exception_fp_ieee_invalid_op 0
		.amdhsa_exception_fp_denorm_src 0
		.amdhsa_exception_fp_ieee_div_zero 0
		.amdhsa_exception_fp_ieee_overflow 0
		.amdhsa_exception_fp_ieee_underflow 0
		.amdhsa_exception_fp_ieee_inexact 0
		.amdhsa_exception_int_div_zero 0
	.end_amdhsa_kernel
	.text
.Lfunc_end0:
	.size	fft_rtc_back_len168_factors_3_7_8_wgs_192_tpt_8_dim2_sp_ip_CI_sbcc_twdbase8_2step_dirReg, .Lfunc_end0-fft_rtc_back_len168_factors_3_7_8_wgs_192_tpt_8_dim2_sp_ip_CI_sbcc_twdbase8_2step_dirReg
                                        ; -- End function
	.section	.AMDGPU.csdata,"",@progbits
; Kernel info:
; codeLenInByte = 12444
; NumSgprs: 38
; NumVgprs: 116
; NumAgprs: 0
; TotalNumVgprs: 116
; ScratchSize: 0
; MemoryBound: 0
; FloatMode: 240
; IeeeMode: 1
; LDSByteSize: 0 bytes/workgroup (compile time only)
; SGPRBlocks: 4
; VGPRBlocks: 14
; NumSGPRsForWavesPerEU: 38
; NumVGPRsForWavesPerEU: 116
; AccumOffset: 116
; Occupancy: 4
; WaveLimiterHint : 1
; COMPUTE_PGM_RSRC2:SCRATCH_EN: 0
; COMPUTE_PGM_RSRC2:USER_SGPR: 2
; COMPUTE_PGM_RSRC2:TRAP_HANDLER: 0
; COMPUTE_PGM_RSRC2:TGID_X_EN: 1
; COMPUTE_PGM_RSRC2:TGID_Y_EN: 0
; COMPUTE_PGM_RSRC2:TGID_Z_EN: 0
; COMPUTE_PGM_RSRC2:TIDIG_COMP_CNT: 0
; COMPUTE_PGM_RSRC3_GFX90A:ACCUM_OFFSET: 28
; COMPUTE_PGM_RSRC3_GFX90A:TG_SPLIT: 0
	.text
	.p2alignl 6, 3212836864
	.fill 256, 4, 3212836864
	.type	__hip_cuid_fa0284407f309bf6,@object ; @__hip_cuid_fa0284407f309bf6
	.section	.bss,"aw",@nobits
	.globl	__hip_cuid_fa0284407f309bf6
__hip_cuid_fa0284407f309bf6:
	.byte	0                               ; 0x0
	.size	__hip_cuid_fa0284407f309bf6, 1

	.ident	"AMD clang version 19.0.0git (https://github.com/RadeonOpenCompute/llvm-project roc-6.4.0 25133 c7fe45cf4b819c5991fe208aaa96edf142730f1d)"
	.section	".note.GNU-stack","",@progbits
	.addrsig
	.addrsig_sym __hip_cuid_fa0284407f309bf6
	.amdgpu_metadata
---
amdhsa.kernels:
  - .agpr_count:     0
    .args:
      - .actual_access:  read_only
        .address_space:  global
        .offset:         0
        .size:           8
        .value_kind:     global_buffer
      - .address_space:  global
        .offset:         8
        .size:           8
        .value_kind:     global_buffer
      - .actual_access:  read_only
        .address_space:  global
        .offset:         16
        .size:           8
        .value_kind:     global_buffer
      - .actual_access:  read_only
        .address_space:  global
        .offset:         24
        .size:           8
        .value_kind:     global_buffer
      - .offset:         32
        .size:           8
        .value_kind:     by_value
      - .actual_access:  read_only
        .address_space:  global
        .offset:         40
        .size:           8
        .value_kind:     global_buffer
      - .actual_access:  read_only
        .address_space:  global
        .offset:         48
        .size:           8
        .value_kind:     global_buffer
      - .offset:         56
        .size:           4
        .value_kind:     by_value
      - .actual_access:  read_only
        .address_space:  global
        .offset:         64
        .size:           8
        .value_kind:     global_buffer
      - .actual_access:  read_only
        .address_space:  global
        .offset:         72
        .size:           8
        .value_kind:     global_buffer
      - .address_space:  global
        .offset:         80
        .size:           8
        .value_kind:     global_buffer
    .group_segment_fixed_size: 0
    .kernarg_segment_align: 8
    .kernarg_segment_size: 88
    .language:       OpenCL C
    .language_version:
      - 2
      - 0
    .max_flat_workgroup_size: 192
    .name:           fft_rtc_back_len168_factors_3_7_8_wgs_192_tpt_8_dim2_sp_ip_CI_sbcc_twdbase8_2step_dirReg
    .private_segment_fixed_size: 0
    .sgpr_count:     38
    .sgpr_spill_count: 0
    .symbol:         fft_rtc_back_len168_factors_3_7_8_wgs_192_tpt_8_dim2_sp_ip_CI_sbcc_twdbase8_2step_dirReg.kd
    .uniform_work_group_size: 1
    .uses_dynamic_stack: false
    .vgpr_count:     116
    .vgpr_spill_count: 0
    .wavefront_size: 64
amdhsa.target:   amdgcn-amd-amdhsa--gfx950
amdhsa.version:
  - 1
  - 2
...

	.end_amdgpu_metadata
